;; amdgpu-corpus repo=ROCm/rocFFT kind=compiled arch=gfx1030 opt=O3
	.text
	.amdgcn_target "amdgcn-amd-amdhsa--gfx1030"
	.amdhsa_code_object_version 6
	.protected	bluestein_single_back_len1375_dim1_dp_op_CI_CI ; -- Begin function bluestein_single_back_len1375_dim1_dp_op_CI_CI
	.globl	bluestein_single_back_len1375_dim1_dp_op_CI_CI
	.p2align	8
	.type	bluestein_single_back_len1375_dim1_dp_op_CI_CI,@function
bluestein_single_back_len1375_dim1_dp_op_CI_CI: ; @bluestein_single_back_len1375_dim1_dp_op_CI_CI
; %bb.0:
	s_load_dwordx4 s[8:11], s[4:5], 0x28
	v_mul_u32_u24_e32 v1, 0x4a8, v0
	s_mov_b64 s[42:43], s[2:3]
	s_mov_b64 s[40:41], s[0:1]
	v_mov_b32_e32 v6, 0
	s_add_u32 s40, s40, s7
	v_lshrrev_b32_e32 v1, 16, v1
	s_addc_u32 s41, s41, 0
	s_mov_b32 s0, exec_lo
	v_add_nc_u32_e32 v5, s6, v1
	s_waitcnt lgkmcnt(0)
	v_cmpx_gt_u64_e64 s[8:9], v[5:6]
	s_cbranch_execz .LBB0_15
; %bb.1:
	s_clause 0x1
	s_load_dwordx4 s[0:3], s[4:5], 0x18
	s_load_dwordx2 s[6:7], s[4:5], 0x0
	v_mul_lo_u16 v1, v1, 55
	v_mov_b32_e32 v6, v5
	v_sub_nc_u16 v2, v0, v1
	v_and_b32_e32 v255, 0xffff, v2
	v_lshlrev_b32_e32 v194, 4, v255
	s_waitcnt lgkmcnt(0)
	s_load_dwordx4 s[12:15], s[0:1], 0x0
	s_clause 0x1
	global_load_dwordx4 v[199:202], v194, s[6:7]
	global_load_dwordx4 v[113:116], v194, s[6:7] offset:2000
	v_add_co_u32 v87, s0, s6, v194
	v_add_co_ci_u32_e64 v88, null, s7, 0, s0
	buffer_store_dword v6, off, s[40:43], 0 offset:544 ; 4-byte Folded Spill
	buffer_store_dword v7, off, s[40:43], 0 offset:548 ; 4-byte Folded Spill
	v_add_co_u32 v59, vcc_lo, 0x800, v87
	v_add_co_ci_u32_e32 v60, vcc_lo, 0, v88, vcc_lo
	v_add_co_u32 v61, vcc_lo, 0x1000, v87
	v_add_co_ci_u32_e32 v62, vcc_lo, 0, v88, vcc_lo
	v_add_co_u32 v65, vcc_lo, 0x1800, v87
	v_add_co_ci_u32_e32 v66, vcc_lo, 0, v88, vcc_lo
	s_waitcnt lgkmcnt(0)
	v_mad_u64_u32 v[0:1], null, s14, v5, 0
	v_mad_u64_u32 v[3:4], null, s12, v255, 0
	v_add_co_u32 v71, vcc_lo, 0x2000, v87
	v_add_co_ci_u32_e32 v72, vcc_lo, 0, v88, vcc_lo
	v_mad_u64_u32 v[5:6], null, s15, v5, v[1:2]
	v_mov_b32_e32 v1, v4
	v_add_co_u32 v75, vcc_lo, 0x2800, v87
	v_add_co_ci_u32_e32 v76, vcc_lo, 0, v88, vcc_lo
	v_mad_u64_u32 v[6:7], null, s13, v255, v[1:2]
	v_mov_b32_e32 v1, v5
	v_add_co_u32 v77, vcc_lo, 0x3000, v87
	v_add_co_ci_u32_e32 v78, vcc_lo, 0, v88, vcc_lo
	v_lshlrev_b64 v[0:1], 4, v[0:1]
	v_mov_b32_e32 v4, v6
	v_add_co_u32 v81, vcc_lo, 0x3800, v87
	v_add_co_ci_u32_e32 v82, vcc_lo, 0, v88, vcc_lo
	v_lshlrev_b64 v[5:6], 4, v[3:4]
	v_add_co_u32 v3, vcc_lo, s10, v0
	v_add_co_ci_u32_e32 v4, vcc_lo, s11, v1, vcc_lo
	s_mul_i32 s1, s13, 0x7d
	s_mul_hi_u32 s8, s12, 0x7d
	v_add_co_u32 v0, vcc_lo, v3, v5
	s_mul_i32 s0, s12, 0x7d
	s_add_i32 s1, s8, s1
	v_add_co_ci_u32_e32 v1, vcc_lo, v4, v6, vcc_lo
	s_lshl_b64 s[16:17], s[0:1], 4
	s_clause 0x1
	global_load_dwordx4 v[161:164], v[59:60], off offset:1952
	global_load_dwordx4 v[137:140], v[61:62], off offset:1904
	v_add_co_u32 v9, vcc_lo, v0, s16
	v_add_co_ci_u32_e32 v10, vcc_lo, s17, v1, vcc_lo
	s_clause 0x1
	global_load_dwordx4 v[149:152], v[65:66], off offset:1856
	global_load_dwordx4 v[145:148], v[71:72], off offset:1808
	v_add_co_u32 v13, vcc_lo, v9, s16
	v_add_co_ci_u32_e32 v14, vcc_lo, s17, v10, vcc_lo
	;; [unrolled: 5-line block ×3, first 2 shown]
	global_load_dwordx4 v[125:128], v[81:82], off offset:1664
	v_add_co_u32 v21, vcc_lo, v17, s16
	v_add_co_ci_u32_e32 v22, vcc_lo, s17, v18, vcc_lo
	s_clause 0x1
	global_load_dwordx4 v[5:8], v[0:1], off
	global_load_dwordx4 v[9:12], v[9:10], off
	v_add_co_u32 v25, vcc_lo, v21, s16
	v_add_co_ci_u32_e32 v26, vcc_lo, s17, v22, vcc_lo
	s_clause 0x1
	global_load_dwordx4 v[13:16], v[13:14], off
	global_load_dwordx4 v[17:20], v[17:18], off
	v_add_co_u32 v29, vcc_lo, v25, s16
	v_add_co_ci_u32_e32 v30, vcc_lo, s17, v26, vcc_lo
	s_mul_hi_u32 s0, s12, 0xfffffb55
	v_add_co_u32 v0, vcc_lo, v29, s16
	v_add_co_ci_u32_e32 v1, vcc_lo, s17, v30, vcc_lo
	s_mul_i32 s1, s13, 0xfffffb55
	v_add_co_u32 v41, vcc_lo, v0, s16
	v_add_co_ci_u32_e32 v42, vcc_lo, s17, v1, vcc_lo
	global_load_dwordx4 v[21:24], v[21:22], off
	global_load_dwordx4 v[25:28], v[25:26], off
	;; [unrolled: 1-line block ×5, first 2 shown]
	v_add_co_u32 v0, vcc_lo, v41, s16
	v_add_co_ci_u32_e32 v1, vcc_lo, s17, v42, vcc_lo
	v_add_co_u32 v91, vcc_lo, 0x4000, v87
	v_add_co_ci_u32_e32 v92, vcc_lo, 0, v88, vcc_lo
	s_sub_i32 s0, s0, s12
	v_add_co_u32 v45, vcc_lo, v0, s16
	v_add_co_ci_u32_e32 v46, vcc_lo, s17, v1, vcc_lo
	s_add_i32 s1, s0, s1
	s_mul_i32 s0, s12, 0xfffffb55
	v_add_co_u32 v93, vcc_lo, 0x4800, v87
	s_lshl_b64 s[0:1], s[0:1], 4
	v_add_co_ci_u32_e32 v94, vcc_lo, 0, v88, vcc_lo
	v_add_co_u32 v53, vcc_lo, v45, s0
	v_add_co_ci_u32_e32 v54, vcc_lo, s1, v46, vcc_lo
	global_load_dwordx4 v[41:44], v[0:1], off
	global_load_dwordx4 v[133:136], v[91:92], off offset:1616
	global_load_dwordx4 v[45:48], v[45:46], off
	global_load_dwordx4 v[129:132], v[93:94], off offset:1568
	global_load_dwordx4 v[49:52], v[53:54], off
	v_add_co_u32 v0, vcc_lo, v53, s16
	v_add_co_ci_u32_e32 v1, vcc_lo, s17, v54, vcc_lo
	global_load_dwordx4 v[141:144], v194, s[6:7] offset:880
	v_add_co_u32 v57, vcc_lo, v0, s16
	global_load_dwordx4 v[53:56], v[0:1], off
	buffer_store_dword v59, off, s[40:43], 0 offset:176 ; 4-byte Folded Spill
	buffer_store_dword v60, off, s[40:43], 0 offset:180 ; 4-byte Folded Spill
	v_add_co_ci_u32_e32 v58, vcc_lo, s17, v1, vcc_lo
	v_add_co_u32 v0, vcc_lo, v57, s16
	v_add_co_ci_u32_e32 v1, vcc_lo, s17, v58, vcc_lo
	v_add_co_u32 v69, vcc_lo, v0, s16
	v_add_co_ci_u32_e32 v70, vcc_lo, s17, v1, vcc_lo
	s_waitcnt vmcnt(15)
	v_mul_f64 v[95:96], v[5:6], v[201:202]
	s_waitcnt vmcnt(14)
	v_mul_f64 v[97:98], v[11:12], v[115:116]
	v_mul_f64 v[99:100], v[9:10], v[115:116]
	s_waitcnt vmcnt(13)
	v_mul_f64 v[101:102], v[15:16], v[163:164]
	s_waitcnt vmcnt(12)
	v_mul_f64 v[105:106], v[19:20], v[139:140]
	v_mul_f64 v[103:104], v[13:14], v[163:164]
	;; [unrolled: 1-line block ×3, first 2 shown]
	s_waitcnt vmcnt(11)
	v_mul_f64 v[109:110], v[23:24], v[151:152]
	v_mul_f64 v[111:112], v[21:22], v[151:152]
	v_fma_f64 v[9:10], v[9:10], v[113:114], v[97:98]
	s_waitcnt vmcnt(9)
	v_mul_f64 v[97:98], v[31:32], v[119:120]
	v_fma_f64 v[13:14], v[13:14], v[161:162], v[101:102]
	v_fma_f64 v[17:18], v[17:18], v[137:138], v[105:106]
	s_waitcnt vmcnt(7)
	v_mul_f64 v[101:102], v[39:40], v[127:128]
	v_fma_f64 v[21:22], v[21:22], v[149:150], v[109:110]
	s_waitcnt vmcnt(5)
	v_mul_f64 v[105:106], v[43:44], v[135:136]
	s_waitcnt vmcnt(3)
	v_mul_f64 v[109:110], v[47:48], v[131:132]
	global_load_dwordx4 v[153:156], v[59:60], off offset:832
	global_load_dwordx4 v[57:60], v[57:58], off
	buffer_store_dword v61, off, s[40:43], 0 offset:184 ; 4-byte Folded Spill
	buffer_store_dword v62, off, s[40:43], 0 offset:188 ; 4-byte Folded Spill
	global_load_dwordx4 v[165:168], v[61:62], off offset:784
	global_load_dwordx4 v[61:64], v[0:1], off
	buffer_store_dword v65, off, s[40:43], 0 offset:168 ; 4-byte Folded Spill
	buffer_store_dword v66, off, s[40:43], 0 offset:172 ; 4-byte Folded Spill
	v_add_co_u32 v0, vcc_lo, v69, s16
	v_add_co_ci_u32_e32 v1, vcc_lo, s17, v70, vcc_lo
	global_load_dwordx4 v[157:160], v[65:66], off offset:736
	global_load_dwordx4 v[65:68], v[69:70], off
	buffer_store_dword v71, off, s[40:43], 0 offset:160 ; 4-byte Folded Spill
	buffer_store_dword v72, off, s[40:43], 0 offset:164 ; 4-byte Folded Spill
	v_add_co_u32 v73, vcc_lo, v0, s16
	v_add_co_ci_u32_e32 v74, vcc_lo, s17, v1, vcc_lo
	;; [unrolled: 6-line block ×3, first 2 shown]
	v_add_co_u32 v85, vcc_lo, v0, s16
	v_add_co_ci_u32_e32 v86, vcc_lo, s17, v1, vcc_lo
	global_load_dwordx4 v[173:176], v[75:76], off offset:640
	global_load_dwordx4 v[73:76], v[73:74], off
	buffer_store_dword v77, off, s[40:43], 0 offset:144 ; 4-byte Folded Spill
	buffer_store_dword v78, off, s[40:43], 0 offset:148 ; 4-byte Folded Spill
	global_load_dwordx4 v[181:184], v[77:78], off offset:592
	global_load_dwordx4 v[77:80], v[0:1], off
	buffer_store_dword v81, off, s[40:43], 0 offset:136 ; 4-byte Folded Spill
	buffer_store_dword v82, off, s[40:43], 0 offset:140 ; 4-byte Folded Spill
	global_load_dwordx4 v[177:180], v[81:82], off offset:544
	global_load_dwordx4 v[81:84], v[85:86], off
	v_add_co_u32 v85, vcc_lo, v85, s16
	v_add_co_ci_u32_e32 v86, vcc_lo, s17, v86, vcc_lo
	v_add_co_u32 v89, vcc_lo, 0x5000, v87
	buffer_store_dword v87, off, s[40:43], 0 offset:128 ; 4-byte Folded Spill
	buffer_store_dword v88, off, s[40:43], 0 offset:132 ; 4-byte Folded Spill
	;; [unrolled: 1-line block ×4, first 2 shown]
	v_add_co_ci_u32_e32 v90, vcc_lo, 0, v88, vcc_lo
	v_add_co_u32 v0, vcc_lo, v85, s16
	v_add_co_ci_u32_e32 v1, vcc_lo, s17, v86, vcc_lo
	global_load_dwordx4 v[185:188], v[91:92], off offset:496
	global_load_dwordx4 v[85:88], v[85:86], off
	buffer_store_dword v93, off, s[40:43], 0 offset:200 ; 4-byte Folded Spill
	buffer_store_dword v94, off, s[40:43], 0 offset:204 ; 4-byte Folded Spill
	v_cmp_gt_u16_e32 vcc_lo, 15, v2
	v_or_b32_e32 v2, 0x550, v255
	s_clause 0x1
	global_load_dwordx4 v[189:192], v[93:94], off offset:448
	global_load_dwordx4 v[195:198], v[89:90], off offset:400
	global_load_dwordx4 v[89:92], v[0:1], off
	v_mul_f64 v[93:94], v[7:8], v[201:202]
	v_fma_f64 v[5:6], v[5:6], v[199:200], v[93:94]
	buffer_store_dword v199, off, s[40:43], 0 offset:552 ; 4-byte Folded Spill
	buffer_store_dword v200, off, s[40:43], 0 offset:556 ; 4-byte Folded Spill
	;; [unrolled: 1-line block ×8, first 2 shown]
	s_load_dwordx2 s[14:15], s[4:5], 0x38
	s_load_dwordx4 s[8:11], s[2:3], 0x0
	buffer_store_dword v161, off, s[40:43], 0 offset:400 ; 4-byte Folded Spill
	buffer_store_dword v162, off, s[40:43], 0 offset:404 ; 4-byte Folded Spill
	;; [unrolled: 1-line block ×12, first 2 shown]
	v_mul_f64 v[93:94], v[27:28], v[147:148]
	v_mul_f64 v[115:116], v[33:34], v[123:124]
	v_fma_f64 v[7:8], v[7:8], v[199:200], -v[95:96]
	v_fma_f64 v[11:12], v[11:12], v[113:114], -v[99:100]
	v_mul_f64 v[113:114], v[35:36], v[123:124]
	v_mul_f64 v[95:96], v[25:26], v[147:148]
	;; [unrolled: 1-line block ×3, first 2 shown]
	v_fma_f64 v[15:16], v[15:16], v[161:162], -v[103:104]
	v_mul_f64 v[103:104], v[37:38], v[127:128]
	v_fma_f64 v[19:20], v[19:20], v[137:138], -v[107:108]
	v_mul_f64 v[107:108], v[41:42], v[135:136]
	;; [unrolled: 2-line block ×3, first 2 shown]
	ds_write_b128 v194, v[5:8]
	v_fma_f64 v[5:6], v[25:26], v[145:146], v[93:94]
	buffer_store_dword v145, off, s[40:43], 0 offset:336 ; 4-byte Folded Spill
	buffer_store_dword v146, off, s[40:43], 0 offset:340 ; 4-byte Folded Spill
	;; [unrolled: 1-line block ×4, first 2 shown]
	ds_write_b128 v194, v[9:12] offset:2000
	v_fma_f64 v[9:10], v[29:30], v[117:118], v[97:98]
	buffer_store_dword v117, off, s[40:43], 0 offset:208 ; 4-byte Folded Spill
	buffer_store_dword v118, off, s[40:43], 0 offset:212 ; 4-byte Folded Spill
	buffer_store_dword v119, off, s[40:43], 0 offset:216 ; 4-byte Folded Spill
	buffer_store_dword v120, off, s[40:43], 0 offset:220 ; 4-byte Folded Spill
	v_fma_f64 v[25:26], v[33:34], v[121:122], v[113:114]
	buffer_store_dword v121, off, s[40:43], 0 offset:224 ; 4-byte Folded Spill
	buffer_store_dword v122, off, s[40:43], 0 offset:228 ; 4-byte Folded Spill
	buffer_store_dword v123, off, s[40:43], 0 offset:232 ; 4-byte Folded Spill
	buffer_store_dword v124, off, s[40:43], 0 offset:236 ; 4-byte Folded Spill
	;; [unrolled: 5-line block ×5, first 2 shown]
	s_waitcnt vmcnt(20)
	v_mul_f64 v[93:94], v[51:52], v[143:144]
	s_waitcnt vmcnt(18)
	v_mul_f64 v[97:98], v[55:56], v[155:156]
	;; [unrolled: 2-line block ×11, first 2 shown]
	v_fma_f64 v[41:42], v[49:50], v[141:142], v[93:94]
	v_fma_f64 v[45:46], v[53:54], v[153:154], v[97:98]
	v_fma_f64 v[7:8], v[27:28], v[145:146], -v[95:96]
	v_mul_f64 v[95:96], v[49:50], v[143:144]
	buffer_store_dword v141, off, s[40:43], 0 offset:320 ; 4-byte Folded Spill
	buffer_store_dword v142, off, s[40:43], 0 offset:324 ; 4-byte Folded Spill
	;; [unrolled: 1-line block ×4, first 2 shown]
	v_fma_f64 v[11:12], v[31:32], v[117:118], -v[99:100]
	v_mul_f64 v[117:118], v[75:76], v[183:184]
	v_fma_f64 v[27:28], v[35:36], v[121:122], -v[115:116]
	v_mul_f64 v[121:122], v[79:80], v[179:180]
	;; [unrolled: 2-line block ×5, first 2 shown]
	v_mul_f64 v[99:100], v[53:54], v[155:156]
	v_mul_f64 v[103:104], v[57:58], v[167:168]
	;; [unrolled: 1-line block ×5, first 2 shown]
	buffer_store_dword v153, off, s[40:43], 0 offset:368 ; 4-byte Folded Spill
	buffer_store_dword v154, off, s[40:43], 0 offset:372 ; 4-byte Folded Spill
	buffer_store_dword v155, off, s[40:43], 0 offset:376 ; 4-byte Folded Spill
	buffer_store_dword v156, off, s[40:43], 0 offset:380 ; 4-byte Folded Spill
	v_fma_f64 v[49:50], v[57:58], v[165:166], v[101:102]
	buffer_store_dword v165, off, s[40:43], 0 offset:416 ; 4-byte Folded Spill
	buffer_store_dword v166, off, s[40:43], 0 offset:420 ; 4-byte Folded Spill
	buffer_store_dword v167, off, s[40:43], 0 offset:424 ; 4-byte Folded Spill
	buffer_store_dword v168, off, s[40:43], 0 offset:428 ; 4-byte Folded Spill
	v_fma_f64 v[53:54], v[61:62], v[157:158], v[105:106]
	;; [unrolled: 5-line block ×8, first 2 shown]
	v_fma_f64 v[77:78], v[85:86], v[189:190], v[129:130]
	buffer_store_dword v189, off, s[40:43], 0 offset:512 ; 4-byte Folded Spill
	buffer_store_dword v190, off, s[40:43], 0 offset:516 ; 4-byte Folded Spill
	;; [unrolled: 1-line block ×8, first 2 shown]
	v_fma_f64 v[43:44], v[51:52], v[141:142], -v[95:96]
	v_fma_f64 v[47:48], v[55:56], v[153:154], -v[99:100]
	v_fma_f64 v[51:52], v[59:60], v[165:166], -v[103:104]
	v_fma_f64 v[55:56], v[63:64], v[157:158], -v[107:108]
	v_fma_f64 v[59:60], v[67:68], v[169:170], -v[111:112]
	v_fma_f64 v[63:64], v[71:72], v[173:174], -v[115:116]
	v_fma_f64 v[67:68], v[75:76], v[181:182], -v[119:120]
	ds_write_b128 v194, v[13:16] offset:4000
	ds_write_b128 v194, v[17:20] offset:6000
	;; [unrolled: 1-line block ×16, first 2 shown]
	v_fma_f64 v[71:72], v[79:80], v[177:178], -v[123:124]
	v_fma_f64 v[75:76], v[83:84], v[185:186], -v[127:128]
	;; [unrolled: 1-line block ×4, first 2 shown]
	buffer_store_dword v2, off, s[40:43], 0 offset:1072 ; 4-byte Folded Spill
	ds_write_b128 v194, v[69:72] offset:14880
	ds_write_b128 v194, v[73:76] offset:16880
	;; [unrolled: 1-line block ×4, first 2 shown]
	s_and_saveexec_b32 s2, vcc_lo
	s_cbranch_execz .LBB0_3
; %bb.2:
	s_clause 0x1
	buffer_load_dword v5, off, s[40:43], 0 offset:128
	buffer_load_dword v6, off, s[40:43], 0 offset:132
	v_add_co_u32 v0, s0, v0, s0
	v_add_co_ci_u32_e64 v1, s0, s1, v1, s0
	v_or_b32_e32 v67, 0x550, v255
	v_add_co_u32 v17, s0, v0, s16
	v_add_co_ci_u32_e64 v18, s0, s17, v1, s0
	v_mad_u64_u32 v[65:66], null, s12, v67, 0
	s_waitcnt vmcnt(0)
	global_load_dwordx4 v[5:8], v[5:6], off offset:1760
	global_load_dwordx4 v[9:12], v[0:1], off
	global_load_dwordx4 v[13:16], v[17:18], off
	v_add_co_u32 v0, s0, v17, s16
	v_add_co_ci_u32_e64 v1, s0, s17, v18, s0
	s_clause 0x1
	buffer_load_dword v17, off, s[40:43], 0 offset:176
	buffer_load_dword v18, off, s[40:43], 0 offset:180
	v_add_co_u32 v25, s0, v0, s16
	v_add_co_ci_u32_e64 v26, s0, s17, v1, s0
	v_add_co_u32 v41, s0, v25, s16
	v_add_co_ci_u32_e64 v42, s0, s17, v26, s0
	s_waitcnt vmcnt(3)
	v_mul_f64 v[89:90], v[11:12], v[7:8]
	v_mul_f64 v[91:92], v[9:10], v[7:8]
	s_waitcnt vmcnt(0)
	global_load_dwordx4 v[17:20], v[17:18], off offset:1712
	global_load_dwordx4 v[21:24], v[0:1], off
	global_load_dwordx4 v[25:28], v[25:26], off
	s_clause 0x1
	buffer_load_dword v0, off, s[40:43], 0 offset:184
	buffer_load_dword v1, off, s[40:43], 0 offset:188
	v_fma_f64 v[7:8], v[9:10], v[5:6], v[89:90]
	v_fma_f64 v[9:10], v[11:12], v[5:6], -v[91:92]
	s_waitcnt vmcnt(4)
	v_mul_f64 v[93:94], v[15:16], v[19:20]
	v_mul_f64 v[19:20], v[13:14], v[19:20]
	s_waitcnt vmcnt(0)
	global_load_dwordx4 v[29:32], v[0:1], off offset:1664
	s_clause 0x1
	buffer_load_dword v0, off, s[40:43], 0 offset:168
	buffer_load_dword v1, off, s[40:43], 0 offset:172
	s_waitcnt vmcnt(0)
	global_load_dwordx4 v[33:36], v[0:1], off offset:1616
	global_load_dwordx4 v[37:40], v[41:42], off
	v_mov_b32_e32 v0, v66
	v_add_co_u32 v1, s0, v41, s16
	v_add_co_ci_u32_e64 v2, s0, s17, v42, s0
	v_mul_f64 v[95:96], v[23:24], v[31:32]
	v_mad_u64_u32 v[45:46], null, s13, v67, v[0:1]
	global_load_dwordx4 v[41:44], v[1:2], off
	v_add_co_u32 v53, s0, v1, s16
	v_add_co_ci_u32_e64 v54, s0, s17, v2, s0
	v_mul_f64 v[31:32], v[21:22], v[31:32]
	v_mov_b32_e32 v66, v45
	s_clause 0x1
	buffer_load_dword v45, off, s[40:43], 0 offset:160
	buffer_load_dword v46, off, s[40:43], 0 offset:164
	v_add_co_u32 v0, s0, v53, s16
	v_add_co_ci_u32_e64 v1, s0, s17, v54, s0
	v_lshlrev_b64 v[65:66], 4, v[65:66]
	v_add_co_u32 v73, s0, v0, s16
	v_add_co_ci_u32_e64 v74, s0, s17, v1, s0
	v_fma_f64 v[11:12], v[13:14], v[17:18], v[93:94]
	v_fma_f64 v[13:14], v[15:16], v[17:18], -v[19:20]
	v_fma_f64 v[15:16], v[21:22], v[29:30], v[95:96]
	v_fma_f64 v[17:18], v[23:24], v[29:30], -v[31:32]
	s_waitcnt vmcnt(4)
	v_mul_f64 v[97:98], v[27:28], v[35:36]
	v_mul_f64 v[35:36], v[25:26], v[35:36]
	s_waitcnt vmcnt(0)
	global_load_dwordx4 v[45:48], v[45:46], off offset:1568
	s_clause 0x1
	buffer_load_dword v49, off, s[40:43], 0 offset:152
	buffer_load_dword v50, off, s[40:43], 0 offset:156
	s_waitcnt vmcnt(0)
	global_load_dwordx4 v[49:52], v[49:50], off offset:1520
	global_load_dwordx4 v[53:56], v[53:54], off
	s_clause 0x1
	buffer_load_dword v57, off, s[40:43], 0 offset:144
	buffer_load_dword v58, off, s[40:43], 0 offset:148
	v_mul_f64 v[99:100], v[39:40], v[47:48]
	v_mul_f64 v[47:48], v[37:38], v[47:48]
	v_fma_f64 v[19:20], v[25:26], v[33:34], v[97:98]
	v_fma_f64 v[21:22], v[27:28], v[33:34], -v[35:36]
	s_waitcnt vmcnt(0)
	global_load_dwordx4 v[57:60], v[57:58], off offset:1472
	global_load_dwordx4 v[61:64], v[0:1], off
	v_add_co_u32 v0, s0, v3, v65
	v_add_co_ci_u32_e64 v1, s0, v4, v66, s0
	v_lshlrev_b32_e32 v4, 4, v67
	global_load_dwordx4 v[0:3], v[0:1], off
	global_load_dwordx4 v[65:68], v4, s[6:7]
	s_clause 0x1
	buffer_load_dword v69, off, s[40:43], 0 offset:136
	buffer_load_dword v70, off, s[40:43], 0 offset:140
	v_add_co_u32 v85, s0, v73, s16
	v_add_co_ci_u32_e64 v86, s0, s17, v74, s0
	v_mul_f64 v[101:102], v[43:44], v[51:52]
	v_mul_f64 v[51:52], v[41:42], v[51:52]
	v_fma_f64 v[23:24], v[37:38], v[45:46], v[99:100]
	v_fma_f64 v[25:26], v[39:40], v[45:46], -v[47:48]
	s_waitcnt vmcnt(0)
	global_load_dwordx4 v[69:72], v[69:70], off offset:1424
	global_load_dwordx4 v[73:76], v[73:74], off
	s_clause 0x1
	buffer_load_dword v77, off, s[40:43], 0 offset:192
	buffer_load_dword v78, off, s[40:43], 0 offset:196
	v_mul_f64 v[103:104], v[55:56], v[59:60]
	v_mul_f64 v[59:60], v[53:54], v[59:60]
	;; [unrolled: 1-line block ×4, first 2 shown]
	v_fma_f64 v[27:28], v[41:42], v[49:50], v[101:102]
	v_fma_f64 v[29:30], v[43:44], v[49:50], -v[51:52]
	v_fma_f64 v[31:32], v[53:54], v[57:58], v[103:104]
	v_fma_f64 v[33:34], v[55:56], v[57:58], -v[59:60]
	;; [unrolled: 2-line block ×3, first 2 shown]
	s_waitcnt vmcnt(3)
	v_mul_f64 v[107:108], v[63:64], v[71:72]
	v_mul_f64 v[71:72], v[61:62], v[71:72]
	s_waitcnt vmcnt(0)
	global_load_dwordx4 v[77:80], v[77:78], off offset:1376
	s_clause 0x1
	buffer_load_dword v81, off, s[40:43], 0 offset:200
	buffer_load_dword v82, off, s[40:43], 0 offset:204
	s_waitcnt vmcnt(0)
	global_load_dwordx4 v[81:84], v[81:82], off offset:1328
	global_load_dwordx4 v[85:88], v[85:86], off
	v_mul_f64 v[109:110], v[75:76], v[79:80]
	v_mul_f64 v[79:80], v[73:74], v[79:80]
	v_fma_f64 v[35:36], v[61:62], v[69:70], v[107:108]
	v_fma_f64 v[37:38], v[63:64], v[69:70], -v[71:72]
	v_fma_f64 v[39:40], v[73:74], v[77:78], v[109:110]
	v_fma_f64 v[41:42], v[75:76], v[77:78], -v[79:80]
	s_waitcnt vmcnt(0)
	v_mul_f64 v[111:112], v[87:88], v[83:84]
	v_mul_f64 v[83:84], v[85:86], v[83:84]
	v_fma_f64 v[43:44], v[85:86], v[81:82], v[111:112]
	v_fma_f64 v[45:46], v[87:88], v[81:82], -v[83:84]
	ds_write_b128 v194, v[7:10] offset:1760
	ds_write_b128 v194, v[11:14] offset:3760
	;; [unrolled: 1-line block ×11, first 2 shown]
.LBB0_3:
	s_or_b32 exec_lo, exec_lo, s2
	s_waitcnt lgkmcnt(0)
	s_waitcnt_vscnt null, 0x0
	s_barrier
	buffer_gl0_inv
	ds_read_b128 v[48:51], v194
	ds_read_b128 v[44:47], v194 offset:880
	ds_read_b128 v[124:127], v194 offset:2000
	;; [unrolled: 1-line block ×21, first 2 shown]
	s_load_dwordx2 s[2:3], s[4:5], 0x8
                                        ; implicit-def: $vgpr0_vgpr1
                                        ; implicit-def: $vgpr4_vgpr5
                                        ; implicit-def: $vgpr8_vgpr9
                                        ; implicit-def: $vgpr12_vgpr13
                                        ; implicit-def: $vgpr16_vgpr17
                                        ; implicit-def: $vgpr32_vgpr33
                                        ; implicit-def: $vgpr28_vgpr29
                                        ; implicit-def: $vgpr24_vgpr25
                                        ; implicit-def: $vgpr20_vgpr21
                                        ; implicit-def: $vgpr36_vgpr37
                                        ; implicit-def: $vgpr40_vgpr41
	s_and_saveexec_b32 s0, vcc_lo
	s_cbranch_execz .LBB0_5
; %bb.4:
	ds_read_b128 v[0:3], v194 offset:1760
	ds_read_b128 v[4:7], v194 offset:3760
	;; [unrolled: 1-line block ×11, first 2 shown]
.LBB0_5:
	s_or_b32 exec_lo, exec_lo, s0
	s_waitcnt lgkmcnt(0)
	v_add_f64 v[136:137], v[44:45], v[108:109]
	v_add_f64 v[132:133], v[48:49], v[124:125]
	;; [unrolled: 1-line block ×6, first 2 shown]
	v_add_f64 v[164:165], v[104:105], -v[80:81]
	v_add_f64 v[166:167], v[106:107], -v[82:83]
	v_add_f64 v[168:169], v[128:129], v[64:65]
	v_add_f64 v[176:177], v[128:129], -v[64:65]
	v_add_f64 v[182:183], v[124:125], v[56:57]
	;; [unrolled: 2-line block ×3, first 2 shown]
	v_add_f64 v[140:141], v[102:103], -v[78:79]
	v_add_f64 v[158:159], v[98:99], -v[90:91]
	;; [unrolled: 1-line block ×3, first 2 shown]
	v_add_f64 v[148:149], v[96:97], v[88:89]
	v_add_f64 v[150:151], v[98:99], v[90:91]
	;; [unrolled: 1-line block ×3, first 2 shown]
	v_add_f64 v[178:179], v[130:131], -v[66:67]
	v_add_f64 v[180:181], v[126:127], v[58:59]
	v_add_f64 v[186:187], v[126:127], -v[58:59]
	v_add_f64 v[195:196], v[136:137], v[112:113]
	v_add_f64 v[190:191], v[132:133], v[128:129]
	;; [unrolled: 1-line block ×4, first 2 shown]
	v_add_f64 v[138:139], v[100:101], -v[76:77]
	v_add_f64 v[134:135], v[100:101], v[76:77]
	v_add_f64 v[132:133], v[92:93], -v[84:85]
	v_add_f64 v[128:129], v[102:103], v[78:79]
	;; [unrolled: 2-line block ×3, first 2 shown]
	s_mov_b32 s26, 0xf8bb580b
	s_mov_b32 s34, 0x8eee2c13
	;; [unrolled: 1-line block ×4, first 2 shown]
	v_add_f64 v[160:161], v[120:121], v[72:73]
	v_add_f64 v[162:163], v[122:123], v[74:75]
	v_add_f64 v[172:173], v[120:121], -v[72:73]
	v_add_f64 v[174:175], v[122:123], -v[74:75]
	v_add_f64 v[146:147], v[118:119], -v[70:71]
	v_add_f64 v[144:145], v[116:117], -v[68:69]
	v_add_f64 v[142:143], v[116:117], v[68:69]
	v_add_f64 v[136:137], v[118:119], v[70:71]
	;; [unrolled: 1-line block ×6, first 2 shown]
	v_add_f64 v[122:123], v[114:115], -v[62:63]
	v_add_f64 v[118:119], v[112:113], -v[60:61]
	v_add_f64 v[116:117], v[112:113], v[60:61]
	v_add_f64 v[120:121], v[114:115], v[62:63]
	v_add_f64 v[190:191], v[110:111], -v[54:55]
	v_add_f64 v[114:115], v[108:109], -v[52:53]
	v_add_f64 v[112:113], v[108:109], v[52:53]
	v_add_f64 v[108:109], v[110:111], v[54:55]
	v_mul_f64 v[110:111], v[186:187], s[26:27]
	s_mov_b32 s20, 0x43842ef
	s_mov_b32 s22, 0xbb3a28a1
	s_mov_b32 s24, 0xfd768dbf
	s_mov_b32 s0, 0x8764f0ba
	s_mov_b32 s18, 0xd9c712b6
	s_mov_b32 s21, 0xbfefac9e
	s_mov_b32 s23, 0xbfe82f19
	s_mov_b32 s25, 0xbfd207e7
	s_mov_b32 s1, 0x3feaeb8c
	v_add_f64 v[100:101], v[195:196], v[100:101]
	v_add_f64 v[104:105], v[199:200], v[104:105]
	v_add_f64 v[106:107], v[192:193], v[106:107]
	v_add_f64 v[102:103], v[197:198], v[102:103]
	v_mul_f64 v[192:193], v[186:187], s[34:35]
	s_mov_b32 s19, 0x3fda9628
	v_mul_f64 v[195:196], v[186:187], s[20:21]
	v_mul_f64 v[197:198], v[184:185], s[22:23]
	;; [unrolled: 1-line block ×6, first 2 shown]
	v_fma_f64 v[219:220], v[182:183], s[0:1], -v[110:111]
	v_fma_f64 v[110:111], v[182:183], s[0:1], v[110:111]
	s_mov_b32 s12, 0x640f44db
	s_mov_b32 s16, 0x7f775887
	;; [unrolled: 1-line block ×8, first 2 shown]
	v_add_f64 v[92:93], v[100:101], v[92:93]
	v_add_f64 v[96:97], v[104:105], v[96:97]
	;; [unrolled: 1-line block ×4, first 2 shown]
	v_mul_f64 v[104:105], v[184:185], s[26:27]
	v_mul_f64 v[106:107], v[184:185], s[34:35]
	;; [unrolled: 1-line block ×6, first 2 shown]
	v_fma_f64 v[225:226], v[182:183], s[18:19], -v[192:193]
	v_fma_f64 v[192:193], v[182:183], s[18:19], v[192:193]
	v_mul_f64 v[203:204], v[174:175], s[20:21]
	v_mul_f64 v[205:206], v[172:173], s[20:21]
	;; [unrolled: 1-line block ×3, first 2 shown]
	v_fma_f64 v[227:228], v[182:183], s[12:13], -v[195:196]
	v_fma_f64 v[195:196], v[182:183], s[12:13], v[195:196]
	v_add_f64 v[219:220], v[48:49], v[219:220]
	v_add_f64 v[110:111], v[48:49], v[110:111]
	s_mov_b32 s31, 0x3fefac9e
	s_mov_b32 s29, 0x3fed1bb4
	s_mov_b32 s30, s20
	v_add_f64 v[84:85], v[92:93], v[84:85]
	v_add_f64 v[88:89], v[96:97], v[88:89]
	;; [unrolled: 1-line block ×4, first 2 shown]
	v_fma_f64 v[231:232], v[180:181], s[0:1], v[104:105]
	v_mul_f64 v[92:93], v[172:173], s[38:39]
	v_mul_f64 v[98:99], v[178:179], s[38:39]
	v_fma_f64 v[229:230], v[182:183], s[16:17], -v[100:101]
	v_fma_f64 v[100:101], v[182:183], s[16:17], v[100:101]
	v_fma_f64 v[233:234], v[182:183], s[4:5], -v[102:103]
	v_fma_f64 v[102:103], v[182:183], s[4:5], v[102:103]
	;; [unrolled: 2-line block ×3, first 2 shown]
	v_add_f64 v[225:226], v[48:49], v[225:226]
	v_add_f64 v[192:193], v[48:49], v[192:193]
	s_mov_b32 s28, s34
	v_mul_f64 v[207:208], v[166:167], s[22:23]
	v_mul_f64 v[209:210], v[164:165], s[22:23]
	;; [unrolled: 1-line block ×6, first 2 shown]
	v_add_f64 v[76:77], v[84:85], v[76:77]
	v_add_f64 v[80:81], v[88:89], v[80:81]
	;; [unrolled: 1-line block ×4, first 2 shown]
	v_fma_f64 v[84:85], v[180:181], s[0:1], -v[104:105]
	v_fma_f64 v[86:87], v[180:181], s[18:19], v[106:107]
	v_fma_f64 v[88:89], v[180:181], s[18:19], -v[106:107]
	v_fma_f64 v[90:91], v[180:181], s[12:13], v[186:187]
	;; [unrolled: 2-line block ×5, first 2 shown]
	v_add_f64 v[231:232], v[50:51], v[231:232]
	v_fma_f64 v[201:202], v[170:171], s[18:19], -v[201:202]
	v_fma_f64 v[235:236], v[160:161], s[12:13], -v[203:204]
	v_fma_f64 v[237:238], v[162:163], s[12:13], v[205:206]
	v_add_f64 v[182:183], v[182:183], v[219:220]
	v_fma_f64 v[219:220], v[168:169], s[4:5], -v[98:99]
	v_add_f64 v[227:228], v[48:49], v[227:228]
	v_add_f64 v[100:101], v[48:49], v[100:101]
	;; [unrolled: 1-line block ×6, first 2 shown]
	v_fma_f64 v[80:81], v[168:169], s[16:17], -v[213:214]
	v_fma_f64 v[82:83], v[170:171], s[16:17], v[215:216]
	v_add_f64 v[84:85], v[50:51], v[84:85]
	v_fma_f64 v[213:214], v[168:169], s[16:17], v[213:214]
	v_add_f64 v[86:87], v[50:51], v[86:87]
	v_fma_f64 v[76:77], v[160:161], s[12:13], v[203:204]
	v_fma_f64 v[78:79], v[162:163], s[12:13], -v[205:206]
	v_fma_f64 v[203:204], v[160:161], s[4:5], -v[217:218]
	v_fma_f64 v[205:206], v[162:163], s[4:5], v[92:93]
	v_fma_f64 v[215:216], v[170:171], s[16:17], -v[215:216]
	v_add_f64 v[184:185], v[184:185], v[231:232]
	v_add_f64 v[88:89], v[50:51], v[88:89]
	;; [unrolled: 1-line block ×3, first 2 shown]
	s_mov_b32 s37, 0x3fe14ced
	s_mov_b32 s36, s26
	v_mul_f64 v[211:212], v[158:159], s[24:25]
	v_fma_f64 v[239:240], v[152:153], s[16:17], -v[207:208]
	v_fma_f64 v[241:242], v[154:155], s[16:17], v[209:210]
	v_add_f64 v[60:61], v[68:69], v[60:61]
	v_add_f64 v[64:65], v[72:73], v[64:65]
	;; [unrolled: 1-line block ×20, first 2 shown]
	v_mul_f64 v[192:193], v[166:167], s[26:27]
	v_fma_f64 v[195:196], v[152:153], s[12:13], -v[94:95]
	v_add_f64 v[48:49], v[60:61], v[52:53]
	v_fma_f64 v[52:53], v[160:161], s[4:5], v[217:218]
	v_add_f64 v[56:57], v[64:65], v[56:57]
	v_add_f64 v[58:59], v[66:67], v[58:59]
	;; [unrolled: 1-line block ×3, first 2 shown]
	v_mul_f64 v[54:55], v[156:157], s[24:25]
	v_add_f64 v[60:61], v[215:216], v[88:89]
	v_fma_f64 v[62:63], v[162:163], s[4:5], -v[92:93]
	v_add_f64 v[64:65], v[76:77], v[72:73]
	v_add_f64 v[66:67], v[78:79], v[74:75]
	v_fma_f64 v[72:73], v[152:153], s[16:17], v[207:208]
	v_fma_f64 v[74:75], v[154:155], s[16:17], -v[209:210]
	v_add_f64 v[76:77], v[219:220], v[227:228]
	v_fma_f64 v[78:79], v[170:171], s[4:5], v[221:222]
	v_mul_f64 v[88:89], v[172:173], s[28:29]
	v_fma_f64 v[92:93], v[160:161], s[18:19], -v[223:224]
	v_add_f64 v[80:81], v[203:204], v[80:81]
	v_mul_f64 v[197:198], v[158:159], s[36:37]
	v_add_f64 v[82:83], v[205:206], v[82:83]
	v_fma_f64 v[199:200], v[154:155], s[12:13], v[96:97]
	v_mul_f64 v[201:202], v[156:157], s[36:37]
	v_add_f64 v[182:183], v[239:240], v[182:183]
	v_add_f64 v[184:185], v[241:242], v[184:185]
	;; [unrolled: 1-line block ×3, first 2 shown]
	v_fma_f64 v[86:87], v[152:153], s[12:13], v[94:95]
	v_fma_f64 v[94:95], v[148:149], s[4:5], -v[211:212]
	v_fma_f64 v[203:204], v[148:149], s[4:5], v[211:212]
	v_mul_f64 v[205:206], v[164:165], s[26:27]
	v_mul_f64 v[207:208], v[158:159], s[22:23]
	v_add_f64 v[60:61], v[62:63], v[60:61]
	v_fma_f64 v[62:63], v[154:155], s[12:13], -v[96:97]
	v_fma_f64 v[96:97], v[150:151], s[4:5], v[54:55]
	v_add_f64 v[72:73], v[72:73], v[64:65]
	v_add_f64 v[74:75], v[74:75], v[66:67]
	v_fma_f64 v[54:55], v[150:151], s[4:5], -v[54:55]
	v_add_f64 v[68:69], v[78:79], v[68:69]
	v_fma_f64 v[78:79], v[162:163], s[18:19], v[88:89]
	v_add_f64 v[76:77], v[92:93], v[76:77]
	v_fma_f64 v[92:93], v[152:153], s[0:1], -v[192:193]
	v_fma_f64 v[98:99], v[168:169], s[4:5], v[98:99]
	v_add_f64 v[80:81], v[195:196], v[80:81]
	v_fma_f64 v[195:196], v[148:149], s[0:1], -v[197:198]
	v_mul_f64 v[209:210], v[178:179], s[30:31]
	v_mul_f64 v[211:212], v[176:177], s[30:31]
	v_add_f64 v[82:83], v[199:200], v[82:83]
	v_fma_f64 v[199:200], v[150:151], s[0:1], v[201:202]
	v_add_f64 v[86:87], v[86:87], v[52:53]
	v_fma_f64 v[197:198], v[148:149], s[0:1], v[197:198]
	buffer_store_dword v48, off, s[40:43], 0 offset:568 ; 4-byte Folded Spill
	buffer_store_dword v49, off, s[40:43], 0 offset:572 ; 4-byte Folded Spill
	;; [unrolled: 1-line block ×4, first 2 shown]
	v_add_f64 v[64:65], v[94:95], v[182:183]
	v_fma_f64 v[94:95], v[150:151], s[0:1], -v[201:202]
	v_mul_f64 v[176:177], v[176:177], s[36:37]
	v_add_f64 v[62:63], v[62:63], v[60:61]
	v_add_f64 v[66:67], v[96:97], v[184:185]
	v_mul_f64 v[96:97], v[178:179], s[36:37]
	v_add_f64 v[48:49], v[203:204], v[72:73]
	v_fma_f64 v[178:179], v[148:149], s[16:17], -v[207:208]
	v_add_f64 v[50:51], v[54:55], v[74:75]
	v_add_f64 v[68:69], v[78:79], v[68:69]
	v_fma_f64 v[78:79], v[170:171], s[4:5], -v[221:222]
	v_add_f64 v[76:77], v[92:93], v[76:77]
	v_fma_f64 v[92:93], v[154:155], s[0:1], v[205:206]
	v_add_f64 v[70:71], v[98:99], v[70:71]
	v_fma_f64 v[98:99], v[160:161], s[18:19], v[223:224]
	v_add_f64 v[72:73], v[195:196], v[80:81]
	v_fma_f64 v[80:81], v[168:169], s[12:13], -v[209:210]
	v_fma_f64 v[182:183], v[170:171], s[12:13], v[211:212]
	v_mul_f64 v[184:185], v[174:175], s[26:27]
	v_mul_f64 v[195:196], v[172:173], s[26:27]
	v_add_f64 v[74:75], v[199:200], v[82:83]
	v_add_f64 v[60:61], v[197:198], v[86:87]
	v_fma_f64 v[82:83], v[168:169], s[12:13], v[209:210]
	v_fma_f64 v[86:87], v[170:171], s[12:13], -v[211:212]
	v_fma_f64 v[199:200], v[170:171], s[0:1], v[176:177]
	v_add_f64 v[62:63], v[94:95], v[62:63]
	v_mul_f64 v[94:95], v[156:157], s[22:23]
	v_fma_f64 v[197:198], v[168:169], s[0:1], -v[96:97]
	v_mul_f64 v[174:175], v[174:175], s[22:23]
	v_mul_f64 v[172:173], v[172:173], s[22:23]
	v_fma_f64 v[88:89], v[162:163], s[18:19], -v[88:89]
	v_mul_f64 v[203:204], v[138:139], s[30:31]
	v_add_f64 v[78:79], v[78:79], v[90:91]
	v_mul_f64 v[213:214], v[138:139], s[24:25]
	v_add_f64 v[90:91], v[92:93], v[68:69]
	v_add_f64 v[68:69], v[178:179], v[76:77]
	v_fma_f64 v[76:77], v[168:169], s[0:1], v[96:97]
	v_fma_f64 v[92:93], v[170:171], s[0:1], -v[176:177]
	v_add_f64 v[70:71], v[98:99], v[70:71]
	v_fma_f64 v[96:97], v[152:153], s[0:1], v[192:193]
	v_add_f64 v[80:81], v[80:81], v[104:105]
	v_add_f64 v[84:85], v[182:183], v[84:85]
	v_fma_f64 v[98:99], v[160:161], s[0:1], -v[184:185]
	v_fma_f64 v[104:105], v[162:163], s[0:1], v[195:196]
	v_mul_f64 v[168:169], v[166:167], s[24:25]
	v_mul_f64 v[170:171], v[164:165], s[24:25]
	v_add_f64 v[82:83], v[82:83], v[100:101]
	v_add_f64 v[86:87], v[86:87], v[106:107]
	v_fma_f64 v[100:101], v[160:161], s[0:1], v[184:185]
	v_fma_f64 v[106:107], v[162:163], s[0:1], -v[195:196]
	v_add_f64 v[110:111], v[197:198], v[110:111]
	v_add_f64 v[176:177], v[199:200], v[186:187]
	v_fma_f64 v[178:179], v[160:161], s[16:17], -v[174:175]
	v_fma_f64 v[182:183], v[162:163], s[16:17], v[172:173]
	v_fma_f64 v[184:185], v[150:151], s[16:17], v[94:95]
	v_add_f64 v[78:79], v[88:89], v[78:79]
	v_mul_f64 v[88:89], v[166:167], s[28:29]
	v_mul_f64 v[164:165], v[164:165], s[28:29]
	v_add_f64 v[76:77], v[76:77], v[102:103]
	v_add_f64 v[92:93], v[92:93], v[180:181]
	v_fma_f64 v[102:103], v[160:161], s[16:17], v[174:175]
	v_fma_f64 v[160:161], v[162:163], s[16:17], -v[172:173]
	v_add_f64 v[96:97], v[96:97], v[70:71]
	v_fma_f64 v[70:71], v[154:155], s[0:1], -v[205:206]
	v_add_f64 v[80:81], v[98:99], v[80:81]
	v_add_f64 v[84:85], v[104:105], v[84:85]
	v_fma_f64 v[98:99], v[152:153], s[4:5], -v[168:169]
	v_fma_f64 v[104:105], v[154:155], s[4:5], v[170:171]
	v_mul_f64 v[162:163], v[158:159], s[28:29]
	v_mul_f64 v[166:167], v[156:157], s[28:29]
	v_add_f64 v[82:83], v[100:101], v[82:83]
	v_fma_f64 v[100:101], v[152:153], s[4:5], v[168:169]
	v_add_f64 v[86:87], v[106:107], v[86:87]
	v_fma_f64 v[106:107], v[154:155], s[4:5], -v[170:171]
	v_mul_f64 v[170:171], v[190:191], s[26:27]
	v_add_f64 v[110:111], v[178:179], v[110:111]
	v_add_f64 v[168:169], v[182:183], v[176:177]
	v_mul_f64 v[172:173], v[114:115], s[26:27]
	v_fma_f64 v[174:175], v[152:153], s[18:19], -v[88:89]
	v_fma_f64 v[176:177], v[154:155], s[18:19], v[164:165]
	v_mul_f64 v[158:159], v[158:159], s[20:21]
	v_mul_f64 v[156:157], v[156:157], s[20:21]
	v_add_f64 v[76:77], v[102:103], v[76:77]
	v_add_f64 v[92:93], v[160:161], v[92:93]
	v_fma_f64 v[88:89], v[152:153], s[18:19], v[88:89]
	v_fma_f64 v[102:103], v[154:155], s[18:19], -v[164:165]
	v_add_f64 v[78:79], v[70:71], v[78:79]
	v_fma_f64 v[152:153], v[148:149], s[16:17], v[207:208]
	v_add_f64 v[80:81], v[98:99], v[80:81]
	v_add_f64 v[98:99], v[104:105], v[84:85]
	v_fma_f64 v[84:85], v[148:149], s[18:19], -v[162:163]
	v_fma_f64 v[104:105], v[150:151], s[18:19], v[166:167]
	v_add_f64 v[70:71], v[184:185], v[90:91]
	v_add_f64 v[82:83], v[100:101], v[82:83]
	v_fma_f64 v[100:101], v[148:149], s[18:19], v[162:163]
	v_mul_f64 v[162:163], v[122:123], s[34:35]
	v_fma_f64 v[90:91], v[112:113], s[0:1], -v[170:171]
	v_fma_f64 v[94:95], v[150:151], s[16:17], -v[94:95]
	v_add_f64 v[106:107], v[106:107], v[86:87]
	v_fma_f64 v[154:155], v[150:151], s[18:19], -v[166:167]
	v_fma_f64 v[160:161], v[108:109], s[0:1], v[172:173]
	v_mul_f64 v[164:165], v[118:119], s[34:35]
	v_add_f64 v[110:111], v[174:175], v[110:111]
	v_add_f64 v[166:167], v[176:177], v[168:169]
	v_fma_f64 v[168:169], v[148:149], s[12:13], -v[158:159]
	v_fma_f64 v[174:175], v[150:151], s[12:13], v[156:157]
	v_add_f64 v[176:177], v[88:89], v[76:77]
	v_add_f64 v[102:103], v[102:103], v[92:93]
	v_fma_f64 v[92:93], v[148:149], s[12:13], v[158:159]
	v_fma_f64 v[148:149], v[150:151], s[12:13], -v[156:157]
	v_add_f64 v[76:77], v[152:153], v[96:97]
	v_mul_f64 v[96:97], v[190:191], s[34:35]
	v_add_f64 v[84:85], v[84:85], v[80:81]
	v_add_f64 v[86:87], v[104:105], v[98:99]
	v_mul_f64 v[156:157], v[146:147], s[20:21]
	v_mul_f64 v[150:151], v[190:191], s[20:21]
	v_add_f64 v[80:81], v[100:101], v[82:83]
	v_mul_f64 v[100:101], v[114:115], s[34:35]
	v_add_f64 v[104:105], v[44:45], v[90:91]
	v_fma_f64 v[152:153], v[116:117], s[18:19], -v[162:163]
	v_add_f64 v[78:79], v[94:95], v[78:79]
	v_mul_f64 v[98:99], v[190:191], s[22:23]
	v_add_f64 v[82:83], v[154:155], v[106:107]
	v_add_f64 v[106:107], v[46:47], v[160:161]
	v_fma_f64 v[154:155], v[120:121], s[18:19], v[164:165]
	v_mul_f64 v[158:159], v[144:145], s[20:21]
	v_add_f64 v[88:89], v[168:169], v[110:111]
	v_add_f64 v[90:91], v[174:175], v[166:167]
	v_fma_f64 v[110:111], v[112:113], s[0:1], v[170:171]
	v_fma_f64 v[160:161], v[108:109], s[0:1], -v[172:173]
	v_add_f64 v[92:93], v[92:93], v[176:177]
	v_add_f64 v[94:95], v[148:149], v[102:103]
	v_mul_f64 v[102:103], v[190:191], s[24:25]
	v_fma_f64 v[148:149], v[112:113], s[18:19], -v[96:97]
	v_mul_f64 v[166:167], v[114:115], s[20:21]
	v_mul_f64 v[170:171], v[114:115], s[22:23]
	;; [unrolled: 1-line block ×4, first 2 shown]
	v_fma_f64 v[96:97], v[112:113], s[18:19], v[96:97]
	v_fma_f64 v[174:175], v[108:109], s[18:19], v[100:101]
	v_fma_f64 v[168:169], v[112:113], s[12:13], -v[150:151]
	v_add_f64 v[104:105], v[152:153], v[104:105]
	v_fma_f64 v[152:153], v[142:143], s[12:13], -v[156:157]
	v_fma_f64 v[150:151], v[112:113], s[12:13], v[150:151]
	v_fma_f64 v[172:173], v[112:113], s[16:17], -v[98:99]
	v_fma_f64 v[98:99], v[112:113], s[16:17], v[98:99]
	v_fma_f64 v[100:101], v[108:109], s[18:19], -v[100:101]
	v_add_f64 v[106:107], v[154:155], v[106:107]
	v_fma_f64 v[154:155], v[136:137], s[12:13], v[158:159]
	v_mul_f64 v[178:179], v[138:139], s[22:23]
	v_add_f64 v[110:111], v[44:45], v[110:111]
	v_add_f64 v[160:161], v[46:47], v[160:161]
	v_fma_f64 v[162:163], v[116:117], s[18:19], v[162:163]
	v_fma_f64 v[164:165], v[120:121], s[18:19], -v[164:165]
	v_fma_f64 v[180:181], v[112:113], s[4:5], -v[102:103]
	v_fma_f64 v[102:103], v[112:113], s[4:5], v[102:103]
	v_fma_f64 v[112:113], v[108:109], s[12:13], v[166:167]
	v_fma_f64 v[166:167], v[108:109], s[12:13], -v[166:167]
	v_mul_f64 v[182:183], v[122:123], s[22:23]
	v_fma_f64 v[184:185], v[108:109], s[16:17], v[170:171]
	v_fma_f64 v[170:171], v[108:109], s[16:17], -v[170:171]
	v_mul_f64 v[186:187], v[118:119], s[22:23]
	v_fma_f64 v[190:191], v[108:109], s[4:5], v[114:115]
	v_fma_f64 v[108:109], v[108:109], s[4:5], -v[114:115]
	v_add_f64 v[114:115], v[44:45], v[148:149]
	v_add_f64 v[148:149], v[46:47], v[174:175]
	;; [unrolled: 1-line block ×3, first 2 shown]
	v_fma_f64 v[152:153], v[134:135], s[16:17], -v[176:177]
	v_mul_f64 v[174:175], v[130:131], s[24:25]
	v_add_f64 v[96:97], v[44:45], v[96:97]
	v_add_f64 v[100:101], v[46:47], v[100:101]
	v_add_f64 v[106:107], v[154:155], v[106:107]
	v_fma_f64 v[154:155], v[128:129], s[16:17], v[178:179]
	v_mul_f64 v[192:193], v[132:133], s[24:25]
	v_add_f64 v[110:111], v[162:163], v[110:111]
	v_add_f64 v[160:161], v[164:165], v[160:161]
	v_fma_f64 v[156:157], v[142:143], s[12:13], v[156:157]
	v_fma_f64 v[158:159], v[136:137], s[12:13], -v[158:159]
	v_add_f64 v[162:163], v[44:45], v[168:169]
	v_mul_f64 v[168:169], v[146:147], s[38:39]
	v_fma_f64 v[164:165], v[116:117], s[16:17], -v[182:183]
	v_mul_f64 v[197:198], v[144:145], s[38:39]
	v_fma_f64 v[182:183], v[116:117], s[16:17], v[182:183]
	v_fma_f64 v[195:196], v[120:121], s[16:17], v[186:187]
	v_add_f64 v[199:200], v[44:45], v[98:99]
	v_fma_f64 v[98:99], v[120:121], s[16:17], -v[186:187]
	v_add_f64 v[150:151], v[44:45], v[150:151]
	v_add_f64 v[172:173], v[44:45], v[172:173]
	v_add_f64 v[205:206], v[44:45], v[180:181]
	v_add_f64 v[104:105], v[152:153], v[104:105]
	v_fma_f64 v[186:187], v[124:125], s[4:5], -v[174:175]
	v_mul_f64 v[152:153], v[122:123], s[38:39]
	v_add_f64 v[207:208], v[44:45], v[102:103]
	v_add_f64 v[112:113], v[46:47], v[112:113]
	;; [unrolled: 1-line block ×3, first 2 shown]
	v_mul_f64 v[154:155], v[118:119], s[38:39]
	v_fma_f64 v[201:202], v[126:127], s[4:5], v[192:193]
	v_add_f64 v[166:167], v[46:47], v[166:167]
	v_add_f64 v[110:111], v[156:157], v[110:111]
	;; [unrolled: 1-line block ×3, first 2 shown]
	v_fma_f64 v[158:159], v[134:135], s[16:17], v[176:177]
	v_fma_f64 v[176:177], v[128:129], s[16:17], -v[178:179]
	v_add_f64 v[114:115], v[164:165], v[114:115]
	v_fma_f64 v[164:165], v[142:143], s[4:5], -v[168:169]
	v_mul_f64 v[178:179], v[140:141], s[30:31]
	v_add_f64 v[148:149], v[195:196], v[148:149]
	v_fma_f64 v[195:196], v[136:137], s[4:5], v[197:198]
	v_add_f64 v[96:97], v[182:183], v[96:97]
	v_fma_f64 v[168:169], v[142:143], s[4:5], v[168:169]
	v_add_f64 v[98:99], v[98:99], v[100:101]
	v_fma_f64 v[100:101], v[136:137], s[4:5], -v[197:198]
	v_add_f64 v[184:185], v[46:47], v[184:185]
	v_add_f64 v[44:45], v[186:187], v[104:105]
	v_mul_f64 v[104:105], v[122:123], s[30:31]
	v_add_f64 v[170:171], v[46:47], v[170:171]
	v_add_f64 v[190:191], v[46:47], v[190:191]
	;; [unrolled: 1-line block ×3, first 2 shown]
	v_fma_f64 v[102:103], v[116:117], s[4:5], -v[152:153]
	v_fma_f64 v[108:109], v[120:121], s[4:5], v[154:155]
	v_mul_f64 v[180:181], v[146:147], s[28:29]
	v_add_f64 v[46:47], v[201:202], v[106:107]
	v_mul_f64 v[106:107], v[144:145], s[28:29]
	v_add_f64 v[110:111], v[158:159], v[110:111]
	v_add_f64 v[156:157], v[176:177], v[156:157]
	v_fma_f64 v[176:177], v[128:129], s[12:13], v[203:204]
	v_add_f64 v[114:115], v[164:165], v[114:115]
	v_fma_f64 v[158:159], v[134:135], s[12:13], -v[178:179]
	v_mul_f64 v[164:165], v[118:119], s[30:31]
	v_add_f64 v[148:149], v[195:196], v[148:149]
	v_mul_f64 v[182:183], v[130:131], s[36:37]
	v_mul_f64 v[186:187], v[132:133], s[36:37]
	v_fma_f64 v[152:153], v[116:117], s[4:5], v[152:153]
	v_add_f64 v[96:97], v[168:169], v[96:97]
	v_fma_f64 v[168:169], v[134:135], s[12:13], v[178:179]
	v_fma_f64 v[154:155], v[120:121], s[4:5], -v[154:155]
	v_add_f64 v[98:99], v[100:101], v[98:99]
	v_fma_f64 v[100:101], v[128:129], s[12:13], -v[203:204]
	v_fma_f64 v[178:179], v[116:117], s[12:13], -v[104:105]
	v_mul_f64 v[195:196], v[146:147], s[26:27]
	v_add_f64 v[102:103], v[102:103], v[162:163]
	v_add_f64 v[108:109], v[108:109], v[112:113]
	v_fma_f64 v[112:113], v[142:143], s[18:19], -v[180:181]
	v_mul_f64 v[162:163], v[140:141], s[26:27]
	v_fma_f64 v[197:198], v[136:137], s[18:19], v[106:107]
	v_fma_f64 v[174:175], v[124:125], s[4:5], v[174:175]
	v_mul_f64 v[201:202], v[138:139], s[26:27]
	v_fma_f64 v[192:193], v[126:127], s[4:5], -v[192:193]
	v_mul_f64 v[203:204], v[144:145], s[26:27]
	v_add_f64 v[114:115], v[158:159], v[114:115]
	v_fma_f64 v[158:159], v[120:121], s[12:13], v[164:165]
	v_add_f64 v[148:149], v[176:177], v[148:149]
	v_fma_f64 v[176:177], v[124:125], s[0:1], -v[182:183]
	v_fma_f64 v[106:107], v[136:137], s[18:19], -v[106:107]
	v_add_f64 v[150:151], v[152:153], v[150:151]
	v_fma_f64 v[152:153], v[142:143], s[18:19], v[180:181]
	v_fma_f64 v[180:181], v[124:125], s[0:1], v[182:183]
	v_add_f64 v[154:155], v[154:155], v[166:167]
	v_fma_f64 v[182:183], v[126:127], s[0:1], -v[186:187]
	v_add_f64 v[166:167], v[100:101], v[98:99]
	v_add_f64 v[172:173], v[178:179], v[172:173]
	v_fma_f64 v[178:179], v[142:143], s[0:1], -v[195:196]
	v_fma_f64 v[209:210], v[126:127], s[0:1], v[186:187]
	v_add_f64 v[168:169], v[168:169], v[96:97]
	v_add_f64 v[112:113], v[112:113], v[102:103]
	v_fma_f64 v[186:187], v[134:135], s[0:1], -v[162:163]
	v_add_f64 v[108:109], v[197:198], v[108:109]
	v_mul_f64 v[197:198], v[140:141], s[24:25]
	v_fma_f64 v[211:212], v[128:129], s[0:1], v[201:202]
	v_add_f64 v[96:97], v[174:175], v[110:111]
	v_mul_f64 v[110:111], v[130:131], s[22:23]
	v_add_f64 v[98:99], v[192:193], v[156:157]
	v_add_f64 v[174:175], v[158:159], v[184:185]
	v_fma_f64 v[184:185], v[136:137], s[0:1], v[203:204]
	v_add_f64 v[100:101], v[176:177], v[114:115]
	v_mul_f64 v[114:115], v[132:133], s[22:23]
	v_fma_f64 v[156:157], v[116:117], s[12:13], v[104:105]
	v_add_f64 v[150:151], v[152:153], v[150:151]
	v_fma_f64 v[152:153], v[134:135], s[0:1], v[162:163]
	v_add_f64 v[154:155], v[106:107], v[154:155]
	v_fma_f64 v[162:163], v[128:129], s[0:1], -v[201:202]
	v_add_f64 v[106:107], v[182:183], v[166:167]
	v_add_f64 v[158:159], v[6:7], -v[42:43]
	v_add_f64 v[166:167], v[178:179], v[172:173]
	v_add_f64 v[178:179], v[4:5], -v[40:41]
	v_add_f64 v[102:103], v[209:210], v[148:149]
	v_add_f64 v[104:105], v[180:181], v[168:169]
	;; [unrolled: 1-line block ×3, first 2 shown]
	v_mul_f64 v[176:177], v[130:131], s[28:29]
	v_fma_f64 v[168:169], v[134:135], s[4:5], -v[197:198]
	v_add_f64 v[172:173], v[211:212], v[108:109]
	v_fma_f64 v[108:109], v[120:121], s[12:13], -v[164:165]
	v_fma_f64 v[164:165], v[124:125], s[16:17], -v[110:111]
	v_mul_f64 v[186:187], v[132:133], s[28:29]
	v_mul_f64 v[192:193], v[122:123], s[36:37]
	v_add_f64 v[174:175], v[184:185], v[174:175]
	v_fma_f64 v[184:185], v[128:129], s[4:5], v[213:214]
	v_mul_f64 v[201:202], v[118:119], s[36:37]
	v_fma_f64 v[118:119], v[126:127], s[16:17], v[114:115]
	v_add_f64 v[156:157], v[156:157], v[199:200]
	v_add_f64 v[209:210], v[152:153], v[150:151]
	v_fma_f64 v[195:196], v[142:143], s[0:1], v[195:196]
	v_add_f64 v[154:155], v[162:163], v[154:155]
	v_fma_f64 v[162:163], v[124:125], s[16:17], v[110:111]
	v_fma_f64 v[114:115], v[126:127], s[16:17], -v[114:115]
	v_add_f64 v[150:151], v[4:5], v[40:41]
	v_mul_f64 v[52:53], v[158:159], s[26:27]
	v_add_f64 v[180:181], v[10:11], -v[38:39]
	v_add_f64 v[152:153], v[6:7], v[42:43]
	v_mul_f64 v[148:149], v[178:179], s[26:27]
	v_add_f64 v[182:183], v[8:9], -v[36:37]
	v_add_f64 v[166:167], v[168:169], v[166:167]
	v_fma_f64 v[168:169], v[124:125], s[18:19], -v[176:177]
	v_add_f64 v[170:171], v[108:109], v[170:171]
	v_fma_f64 v[199:200], v[136:137], s[0:1], -v[203:204]
	;; [unrolled: 2-line block ×3, first 2 shown]
	v_mul_f64 v[215:216], v[146:147], s[22:23]
	v_add_f64 v[164:165], v[184:185], v[174:175]
	v_fma_f64 v[174:175], v[126:127], s[18:19], v[186:187]
	v_fma_f64 v[211:212], v[120:121], s[0:1], v[201:202]
	v_mul_f64 v[217:218], v[144:145], s[22:23]
	v_add_f64 v[110:111], v[118:119], v[172:173]
	v_add_f64 v[172:173], v[195:196], v[156:157]
	v_fma_f64 v[195:196], v[134:135], s[4:5], v[197:198]
	v_add_f64 v[112:113], v[162:163], v[209:210]
	v_fma_f64 v[162:163], v[116:117], s[0:1], v[192:193]
	;; [unrolled: 2-line block ×3, first 2 shown]
	v_add_f64 v[154:155], v[8:9], v[36:37]
	v_mul_f64 v[144:145], v[180:181], s[34:35]
	v_fma_f64 v[209:210], v[152:153], s[0:1], -v[148:149]
	v_add_f64 v[156:157], v[10:11], v[38:39]
	v_mul_f64 v[146:147], v[182:183], s[34:35]
	v_add_f64 v[184:185], v[14:15], -v[22:23]
	v_add_f64 v[192:193], v[12:13], -v[20:21]
	v_add_f64 v[116:117], v[168:169], v[166:167]
	v_add_f64 v[166:167], v[199:200], v[170:171]
	v_fma_f64 v[168:169], v[128:129], s[4:5], -v[213:214]
	v_add_f64 v[170:171], v[203:204], v[205:206]
	v_mul_f64 v[203:204], v[140:141], s[28:29]
	v_add_f64 v[118:119], v[174:175], v[164:165]
	v_add_f64 v[174:175], v[211:212], v[190:191]
	v_fma_f64 v[190:191], v[142:143], s[16:17], -v[215:216]
	v_fma_f64 v[199:200], v[136:137], s[16:17], v[217:218]
	v_mul_f64 v[205:206], v[138:139], s[28:29]
	v_add_f64 v[195:196], v[195:196], v[172:173]
	v_fma_f64 v[172:173], v[120:121], s[0:1], -v[201:202]
	v_add_f64 v[201:202], v[162:163], v[207:208]
	v_fma_f64 v[207:208], v[142:143], s[16:17], v[215:216]
	v_add_f64 v[197:198], v[0:1], v[197:198]
	v_mul_f64 v[140:141], v[158:159], s[34:35]
	v_fma_f64 v[211:212], v[154:155], s[18:19], v[144:145]
	v_add_f64 v[209:210], v[2:3], v[209:210]
	v_add_f64 v[142:143], v[12:13], v[20:21]
	v_fma_f64 v[213:214], v[156:157], s[18:19], -v[146:147]
	v_mul_f64 v[120:121], v[184:185], s[20:21]
	v_add_f64 v[162:163], v[14:15], v[22:23]
	v_mul_f64 v[138:139], v[192:193], s[20:21]
	v_add_f64 v[219:220], v[18:19], -v[26:27]
	v_add_f64 v[223:224], v[16:17], -v[24:25]
	v_mul_f64 v[164:165], v[178:179], s[34:35]
	v_add_f64 v[215:216], v[168:169], v[166:167]
	v_fma_f64 v[221:222], v[124:125], s[18:19], v[176:177]
	v_fma_f64 v[217:218], v[136:137], s[16:17], -v[217:218]
	v_add_f64 v[168:169], v[190:191], v[170:171]
	v_add_f64 v[170:171], v[199:200], v[174:175]
	v_fma_f64 v[174:175], v[134:135], s[18:19], -v[203:204]
	v_fma_f64 v[176:177], v[128:129], s[18:19], v[205:206]
	v_mul_f64 v[190:191], v[130:131], s[20:21]
	v_mul_f64 v[199:200], v[132:133], s[20:21]
	v_add_f64 v[172:173], v[172:173], v[160:161]
	v_add_f64 v[201:202], v[207:208], v[201:202]
	v_fma_f64 v[207:208], v[150:151], s[18:19], v[140:141]
	v_mul_f64 v[160:161], v[180:181], s[22:23]
	v_fma_f64 v[203:204], v[134:135], s[18:19], v[203:204]
	v_add_f64 v[197:198], v[211:212], v[197:198]
	v_add_f64 v[209:210], v[213:214], v[209:210]
	v_fma_f64 v[211:212], v[142:143], s[12:13], v[120:121]
	v_add_f64 v[134:135], v[16:17], v[24:25]
	v_fma_f64 v[213:214], v[162:163], s[12:13], -v[138:139]
	v_mul_f64 v[130:131], v[219:220], s[22:23]
	v_add_f64 v[136:137], v[18:19], v[26:27]
	v_mul_f64 v[132:133], v[223:224], s[22:23]
	v_add_f64 v[227:228], v[34:35], -v[30:31]
	v_add_f64 v[231:232], v[32:33], -v[28:29]
	v_fma_f64 v[225:226], v[152:153], s[18:19], -v[164:165]
	v_mul_f64 v[166:167], v[182:183], s[22:23]
	v_fma_f64 v[205:206], v[128:129], s[18:19], -v[205:206]
	v_add_f64 v[229:230], v[174:175], v[168:169]
	v_add_f64 v[235:236], v[176:177], v[170:171]
	;; [unrolled: 1-line block ×3, first 2 shown]
	v_mul_f64 v[233:234], v[158:159], s[20:21]
	v_add_f64 v[217:218], v[217:218], v[172:173]
	v_add_f64 v[172:173], v[34:35], v[30:31]
	;; [unrolled: 1-line block ×3, first 2 shown]
	v_fma_f64 v[239:240], v[154:155], s[16:17], v[160:161]
	v_mul_f64 v[237:238], v[178:179], s[20:21]
	v_mul_f64 v[174:175], v[184:185], s[38:39]
	;; [unrolled: 1-line block ×3, first 2 shown]
	v_add_f64 v[211:212], v[211:212], v[197:198]
	buffer_store_dword v48, off, s[40:43], 0 offset:584 ; 4-byte Folded Spill
	buffer_store_dword v49, off, s[40:43], 0 offset:588 ; 4-byte Folded Spill
	;; [unrolled: 1-line block ×4, first 2 shown]
	v_add_f64 v[209:210], v[213:214], v[209:210]
	v_fma_f64 v[213:214], v[134:135], s[16:17], v[130:131]
	v_fma_f64 v[186:187], v[126:127], s[18:19], -v[186:187]
	v_fma_f64 v[249:250], v[136:137], s[16:17], -v[132:133]
	v_mul_f64 v[128:129], v[227:228], s[24:25]
	v_mul_f64 v[168:169], v[231:232], s[24:25]
	v_add_f64 v[225:226], v[2:3], v[225:226]
	v_fma_f64 v[241:242], v[156:157], s[16:17], -v[166:167]
	v_fma_f64 v[243:244], v[124:125], s[12:13], -v[190:191]
	v_fma_f64 v[245:246], v[126:127], s[12:13], v[199:200]
	v_add_f64 v[247:248], v[203:204], v[201:202]
	v_mul_f64 v[253:254], v[180:181], s[38:39]
	v_fma_f64 v[251:252], v[150:151], s[12:13], -v[233:234]
	v_mul_f64 v[122:123], v[182:183], s[38:39]
	v_add_f64 v[50:51], v[205:206], v[217:218]
	v_fma_f64 v[190:191], v[124:125], s[12:13], v[190:191]
	v_add_f64 v[239:240], v[239:240], v[207:208]
	v_fma_f64 v[188:189], v[152:153], s[12:13], v[237:238]
	v_fma_f64 v[217:218], v[126:127], s[12:13], -v[199:200]
	v_fma_f64 v[48:49], v[162:163], s[4:5], -v[176:177]
	v_mul_f64 v[124:125], v[219:220], s[30:31]
	v_mul_f64 v[126:127], v[223:224], s[30:31]
	v_add_f64 v[196:197], v[221:222], v[195:196]
	v_add_f64 v[54:55], v[213:214], v[211:212]
	;; [unrolled: 1-line block ×4, first 2 shown]
	v_fma_f64 v[210:211], v[170:171], s[4:5], v[128:129]
	v_fma_f64 v[212:213], v[172:173], s[4:5], -v[168:169]
	v_mul_f64 v[186:187], v[227:228], s[36:37]
	v_add_f64 v[225:226], v[241:242], v[225:226]
	v_fma_f64 v[241:242], v[142:143], s[4:5], v[174:175]
	v_add_f64 v[200:201], v[243:244], v[229:230]
	v_add_f64 v[202:203], v[245:246], v[235:236]
	v_fma_f64 v[221:222], v[154:155], s[4:5], -v[253:254]
	v_add_f64 v[214:215], v[0:1], v[251:252]
	v_fma_f64 v[229:230], v[156:157], s[4:5], v[122:123]
	v_mul_f64 v[235:236], v[184:185], s[28:29]
	v_mul_f64 v[243:244], v[192:193], s[28:29]
	v_add_f64 v[204:205], v[190:191], v[247:248]
	v_add_f64 v[188:189], v[2:3], v[188:189]
	;; [unrolled: 1-line block ×3, first 2 shown]
	v_fma_f64 v[50:51], v[150:151], s[12:13], v[233:234]
	v_mul_f64 v[190:191], v[231:232], s[36:37]
	v_fma_f64 v[233:234], v[136:137], s[12:13], -v[126:127]
	v_fma_f64 v[122:123], v[156:157], s[4:5], -v[122:123]
	v_mov_b32_e32 v250, v255
	v_add_f64 v[210:211], v[210:211], v[54:55]
	v_add_f64 v[212:213], v[212:213], v[208:209]
	buffer_store_dword v210, off, s[40:43], 0 ; 4-byte Folded Spill
	buffer_store_dword v211, off, s[40:43], 0 offset:4 ; 4-byte Folded Spill
	buffer_store_dword v212, off, s[40:43], 0 offset:8 ; 4-byte Folded Spill
	;; [unrolled: 1-line block ×3, first 2 shown]
	v_add_f64 v[216:217], v[241:242], v[239:240]
	v_add_f64 v[48:49], v[48:49], v[225:226]
	v_fma_f64 v[225:226], v[134:135], s[12:13], v[124:125]
	v_add_f64 v[54:55], v[221:222], v[214:215]
	v_add_f64 v[188:189], v[229:230], v[188:189]
	v_fma_f64 v[208:209], v[142:143], s[18:19], -v[235:236]
	v_fma_f64 v[210:211], v[162:163], s[18:19], v[243:244]
	v_mul_f64 v[212:213], v[219:220], s[26:27]
	v_mul_f64 v[214:215], v[223:224], s[26:27]
	v_add_f64 v[50:51], v[0:1], v[50:51]
	v_fma_f64 v[221:222], v[154:155], s[4:5], v[253:254]
	v_fma_f64 v[229:230], v[152:153], s[12:13], -v[237:238]
	v_mul_f64 v[237:238], v[158:159], s[22:23]
	v_mul_f64 v[158:159], v[158:159], s[24:25]
	v_add_f64 v[48:49], v[233:234], v[48:49]
	v_add_f64 v[216:217], v[225:226], v[216:217]
	v_fma_f64 v[225:226], v[170:171], s[0:1], v[186:187]
	v_fma_f64 v[233:234], v[172:173], s[0:1], -v[190:191]
	v_add_f64 v[54:55], v[208:209], v[54:55]
	v_add_f64 v[188:189], v[210:211], v[188:189]
	v_fma_f64 v[208:209], v[134:135], s[0:1], -v[212:213]
	v_fma_f64 v[210:211], v[136:137], s[0:1], v[214:215]
	v_add_f64 v[50:51], v[221:222], v[50:51]
	v_add_f64 v[221:222], v[2:3], v[229:230]
	v_fma_f64 v[229:230], v[142:143], s[18:19], v[235:236]
	v_fma_f64 v[235:236], v[150:151], s[16:17], v[237:238]
	v_add_f64 v[239:240], v[225:226], v[216:217]
	v_add_f64 v[241:242], v[233:234], v[48:49]
	v_fma_f64 v[48:49], v[150:151], s[16:17], -v[237:238]
	v_mul_f64 v[216:217], v[180:181], s[30:31]
	v_mul_f64 v[225:226], v[178:179], s[22:23]
	v_add_f64 v[54:55], v[208:209], v[54:55]
	v_add_f64 v[188:189], v[210:211], v[188:189]
	v_fma_f64 v[208:209], v[162:163], s[18:19], -v[243:244]
	v_add_f64 v[122:123], v[122:123], v[221:222]
	v_add_f64 v[50:51], v[229:230], v[50:51]
	v_fma_f64 v[210:211], v[134:135], s[0:1], v[212:213]
	v_mul_f64 v[229:230], v[182:183], s[30:31]
	v_mul_f64 v[233:234], v[184:185], s[26:27]
	;; [unrolled: 1-line block ×6, first 2 shown]
	buffer_store_dword v239, off, s[40:43], 0 offset:16 ; 4-byte Folded Spill
	buffer_store_dword v240, off, s[40:43], 0 offset:20 ; 4-byte Folded Spill
	;; [unrolled: 1-line block ×4, first 2 shown]
	v_add_f64 v[48:49], v[0:1], v[48:49]
	v_fma_f64 v[212:213], v[154:155], s[12:13], -v[216:217]
	v_fma_f64 v[221:222], v[152:153], s[16:17], v[225:226]
	v_fma_f64 v[225:226], v[152:153], s[16:17], -v[225:226]
	v_add_f64 v[122:123], v[208:209], v[122:123]
	v_fma_f64 v[208:209], v[136:137], s[0:1], -v[214:215]
	v_add_f64 v[50:51], v[210:211], v[50:51]
	v_fma_f64 v[214:215], v[142:143], s[0:1], -v[233:234]
	v_fma_f64 v[233:234], v[142:143], s[0:1], v[233:234]
	v_add_f64 v[48:49], v[212:213], v[48:49]
	v_add_f64 v[210:211], v[2:3], v[221:222]
	v_fma_f64 v[212:213], v[156:157], s[12:13], v[229:230]
	v_mul_f64 v[221:222], v[192:193], s[26:27]
	v_fma_f64 v[229:230], v[156:157], s[12:13], -v[229:230]
	v_mul_f64 v[192:193], v[192:193], s[22:23]
	v_add_f64 v[122:123], v[208:209], v[122:123]
	v_add_f64 v[48:49], v[214:215], v[48:49]
	v_fma_f64 v[214:215], v[154:155], s[12:13], v[216:217]
	v_add_f64 v[208:209], v[212:213], v[210:211]
	v_fma_f64 v[210:211], v[162:163], s[0:1], v[221:222]
	v_add_f64 v[212:213], v[0:1], v[235:236]
	v_add_f64 v[216:217], v[2:3], v[225:226]
	v_fma_f64 v[225:226], v[150:151], s[4:5], -v[158:159]
	v_fma_f64 v[235:236], v[152:153], s[4:5], v[178:179]
	v_fma_f64 v[158:159], v[150:151], s[4:5], v[158:159]
	v_fma_f64 v[178:179], v[152:153], s[4:5], -v[178:179]
	v_fma_f64 v[221:222], v[162:163], s[0:1], -v[221:222]
	v_add_f64 v[208:209], v[210:211], v[208:209]
	v_mul_f64 v[210:211], v[219:220], s[24:25]
	v_add_f64 v[212:213], v[214:215], v[212:213]
	v_add_f64 v[214:215], v[0:1], v[225:226]
	v_fma_f64 v[225:226], v[154:155], s[0:1], -v[180:181]
	v_add_f64 v[216:217], v[229:230], v[216:217]
	v_add_f64 v[229:230], v[2:3], v[235:236]
	v_fma_f64 v[235:236], v[156:157], s[0:1], v[182:183]
	v_add_f64 v[158:159], v[0:1], v[158:159]
	v_fma_f64 v[180:181], v[154:155], s[0:1], v[180:181]
	v_add_f64 v[178:179], v[2:3], v[178:179]
	v_fma_f64 v[182:183], v[156:157], s[0:1], -v[182:183]
	v_mul_f64 v[218:219], v[219:220], s[28:29]
	v_add_f64 v[212:213], v[233:234], v[212:213]
	v_add_f64 v[214:215], v[225:226], v[214:215]
	v_fma_f64 v[225:226], v[134:135], s[4:5], -v[210:211]
	v_add_f64 v[216:217], v[221:222], v[216:217]
	v_add_f64 v[229:230], v[235:236], v[229:230]
	v_mul_f64 v[235:236], v[223:224], s[24:25]
	v_mul_f64 v[220:221], v[231:232], s[22:23]
	v_fma_f64 v[210:211], v[134:135], s[4:5], v[210:211]
	v_add_f64 v[158:159], v[180:181], v[158:159]
	v_fma_f64 v[180:181], v[142:143], s[16:17], -v[184:185]
	v_add_f64 v[178:179], v[182:183], v[178:179]
	v_fma_f64 v[182:183], v[162:163], s[16:17], v[192:193]
	v_fma_f64 v[184:185], v[142:143], s[16:17], v[184:185]
	v_fma_f64 v[192:193], v[162:163], s[16:17], -v[192:193]
	v_mul_f64 v[223:224], v[223:224], s[28:29]
	v_add_f64 v[48:49], v[225:226], v[48:49]
	v_mul_f64 v[225:226], v[227:228], s[22:23]
	v_fma_f64 v[233:234], v[136:137], s[4:5], v[235:236]
	v_fma_f64 v[235:236], v[136:137], s[4:5], -v[235:236]
	v_add_f64 v[210:211], v[210:211], v[212:213]
	v_fma_f64 v[212:213], v[172:173], s[16:17], v[220:221]
	v_add_f64 v[180:181], v[180:181], v[214:215]
	v_mul_f64 v[214:215], v[227:228], s[28:29]
	v_add_f64 v[182:183], v[182:183], v[229:230]
	v_fma_f64 v[229:230], v[134:135], s[18:19], -v[218:219]
	v_add_f64 v[158:159], v[184:185], v[158:159]
	v_mul_f64 v[184:185], v[231:232], s[28:29]
	v_add_f64 v[178:179], v[192:193], v[178:179]
	v_fma_f64 v[192:193], v[136:137], s[18:19], v[223:224]
	v_mul_f64 v[227:228], v[227:228], s[20:21]
	v_fma_f64 v[218:219], v[134:135], s[18:19], v[218:219]
	v_mul_f64 v[231:232], v[231:232], s[20:21]
	v_fma_f64 v[222:223], v[136:137], s[18:19], -v[223:224]
	v_fma_f64 v[220:221], v[172:173], s[16:17], -v[220:221]
	v_add_f64 v[208:209], v[233:234], v[208:209]
	v_fma_f64 v[233:234], v[170:171], s[16:17], -v[225:226]
	v_fma_f64 v[224:225], v[170:171], s[16:17], v[225:226]
	v_add_f64 v[239:240], v[212:213], v[188:189]
	v_add_f64 v[216:217], v[235:236], v[216:217]
	v_fma_f64 v[235:236], v[170:171], s[18:19], -v[214:215]
	v_fma_f64 v[214:215], v[170:171], s[18:19], v[214:215]
	v_add_f64 v[180:181], v[229:230], v[180:181]
	v_fma_f64 v[229:230], v[172:173], s[18:19], v[184:185]
	v_fma_f64 v[184:185], v[172:173], s[18:19], -v[184:185]
	v_add_f64 v[182:183], v[192:193], v[182:183]
	v_fma_f64 v[192:193], v[170:171], s[12:13], -v[227:228]
	v_add_f64 v[158:159], v[218:219], v[158:159]
	v_fma_f64 v[218:219], v[172:173], s[12:13], v[231:232]
	v_add_f64 v[222:223], v[222:223], v[178:179]
	v_fma_f64 v[226:227], v[170:171], s[12:13], v[227:228]
	v_fma_f64 v[231:232], v[172:173], s[12:13], -v[231:232]
	v_mov_b32_e32 v178, 4
	v_add_f64 v[237:238], v[233:234], v[54:55]
	buffer_store_dword v237, off, s[40:43], 0 offset:112 ; 4-byte Folded Spill
	buffer_store_dword v238, off, s[40:43], 0 offset:116 ; 4-byte Folded Spill
	;; [unrolled: 1-line block ×4, first 2 shown]
	v_add_f64 v[237:238], v[224:225], v[50:51]
	v_add_f64 v[239:240], v[220:221], v[122:123]
	v_add_f64 v[48:49], v[235:236], v[48:49]
	v_add_f64 v[50:51], v[229:230], v[208:209]
	v_add_f64 v[208:209], v[214:215], v[210:211]
	v_add_f64 v[210:211], v[184:185], v[216:217]
	v_add_f64 v[179:180], v[192:193], v[180:181]
	v_add_f64 v[181:182], v[218:219], v[182:183]
	buffer_store_dword v237, off, s[40:43], 0 offset:32 ; 4-byte Folded Spill
	buffer_store_dword v238, off, s[40:43], 0 offset:36 ; 4-byte Folded Spill
	;; [unrolled: 1-line block ×16, first 2 shown]
	v_add_f64 v[179:180], v[226:227], v[158:159]
	v_add_f64 v[181:182], v[231:232], v[222:223]
	v_mul_lo_u16 v48, v250, 11
	v_add_co_u32 v159, s20, v250, 55
	buffer_store_dword v179, off, s[40:43], 0 offset:64 ; 4-byte Folded Spill
	buffer_store_dword v180, off, s[40:43], 0 offset:68 ; 4-byte Folded Spill
	buffer_store_dword v181, off, s[40:43], 0 offset:72 ; 4-byte Folded Spill
	buffer_store_dword v182, off, s[40:43], 0 offset:76 ; 4-byte Folded Spill
	v_lshlrev_b32_sdwa v195, v178, v48 dst_sel:DWORD dst_unused:UNUSED_PAD src0_sel:DWORD src1_sel:WORD_0
	v_add_co_ci_u32_e64 v48, null, 0, 0, s20
	v_mul_u32_u24_e32 v48, 11, v159
	s_waitcnt_vscnt null, 0x0
	s_barrier
	buffer_gl0_inv
	ds_write_b128 v195, v[56:59]
	ds_write_b128 v195, v[64:67] offset:16
	ds_write_b128 v195, v[72:75] offset:32
	;; [unrolled: 1-line block ×9, first 2 shown]
	v_lshlrev_b32_e32 v193, 4, v48
	s_clause 0x3
	buffer_load_dword v48, off, s[40:43], 0 offset:584
	buffer_load_dword v49, off, s[40:43], 0 offset:588
	;; [unrolled: 1-line block ×4, first 2 shown]
	v_add_co_u32 v158, null, 0x6e, v250
	s_waitcnt vmcnt(0)
	ds_write_b128 v195, v[48:51] offset:160
	s_clause 0x3
	buffer_load_dword v48, off, s[40:43], 0 offset:568
	buffer_load_dword v49, off, s[40:43], 0 offset:572
	;; [unrolled: 1-line block ×4, first 2 shown]
	s_waitcnt vmcnt(0)
	ds_write_b128 v193, v[48:51]
	ds_write_b128 v193, v[44:47] offset:16
	ds_write_b128 v193, v[100:103] offset:32
	v_mul_u32_u24_e32 v44, 11, v158
	ds_write_b128 v193, v[108:111] offset:48
	ds_write_b128 v193, v[116:119] offset:64
	;; [unrolled: 1-line block ×4, first 2 shown]
	buffer_store_dword v44, off, s[40:43], 0 offset:1076 ; 4-byte Folded Spill
	ds_write_b128 v193, v[196:199] offset:112
	ds_write_b128 v193, v[112:115] offset:128
	ds_write_b128 v193, v[104:107] offset:144
	ds_write_b128 v193, v[96:99] offset:160
	s_and_saveexec_b32 s20, vcc_lo
	s_cbranch_execz .LBB0_7
; %bb.6:
	v_add_f64 v[6:7], v[2:3], v[6:7]
	v_add_f64 v[4:5], v[0:1], v[4:5]
	v_mul_f64 v[44:45], v[156:157], s[18:19]
	v_mul_f64 v[46:47], v[154:155], s[18:19]
	;; [unrolled: 1-line block ×4, first 2 shown]
	v_add_f64 v[6:7], v[6:7], v[10:11]
	v_add_f64 v[4:5], v[4:5], v[8:9]
	v_mul_f64 v[8:9], v[152:153], s[18:19]
	v_mul_f64 v[10:11], v[150:151], s[18:19]
	v_add_f64 v[44:45], v[146:147], v[44:45]
	v_add_f64 v[46:47], v[46:47], -v[144:145]
	v_add_f64 v[50:51], v[176:177], v[50:51]
	v_add_f64 v[48:49], v[48:49], -v[174:175]
	v_add_f64 v[6:7], v[6:7], v[14:15]
	v_add_f64 v[4:5], v[4:5], v[12:13]
	v_mul_f64 v[12:13], v[152:153], s[0:1]
	v_mul_f64 v[14:15], v[150:151], s[0:1]
	v_add_f64 v[8:9], v[164:165], v[8:9]
	v_add_f64 v[10:11], v[10:11], -v[140:141]
	v_add_f64 v[6:7], v[6:7], v[18:19]
	v_add_f64 v[4:5], v[4:5], v[16:17]
	;; [unrolled: 1-line block ×3, first 2 shown]
	v_add_f64 v[14:15], v[14:15], -v[52:53]
	v_mul_f64 v[16:17], v[156:157], s[16:17]
	v_mul_f64 v[18:19], v[154:155], s[16:17]
	v_add_f64 v[8:9], v[2:3], v[8:9]
	v_add_f64 v[10:11], v[0:1], v[10:11]
	;; [unrolled: 1-line block ×4, first 2 shown]
	v_mul_f64 v[32:33], v[142:143], s[12:13]
	v_mul_f64 v[34:35], v[162:163], s[12:13]
	v_add_f64 v[2:3], v[2:3], v[12:13]
	v_add_f64 v[0:1], v[0:1], v[14:15]
	;; [unrolled: 1-line block ×3, first 2 shown]
	v_add_f64 v[18:19], v[18:19], -v[160:161]
	v_mul_f64 v[12:13], v[134:135], s[16:17]
	v_mul_f64 v[14:15], v[136:137], s[16:17]
	v_add_f64 v[6:7], v[6:7], v[30:31]
	v_add_f64 v[4:5], v[4:5], v[28:29]
	v_add_f64 v[32:33], v[32:33], -v[120:121]
	v_add_f64 v[34:35], v[138:139], v[34:35]
	v_add_f64 v[2:3], v[44:45], v[2:3]
	;; [unrolled: 1-line block ×5, first 2 shown]
	v_mul_f64 v[16:17], v[170:171], s[4:5]
	v_mul_f64 v[18:19], v[172:173], s[4:5]
	v_add_f64 v[14:15], v[132:133], v[14:15]
	v_add_f64 v[12:13], v[12:13], -v[130:131]
	v_mul_f64 v[28:29], v[134:135], s[12:13]
	v_mul_f64 v[30:31], v[136:137], s[12:13]
	v_add_f64 v[6:7], v[6:7], v[26:27]
	v_add_f64 v[4:5], v[4:5], v[24:25]
	v_mul_f64 v[24:25], v[170:171], s[0:1]
	v_mul_f64 v[26:27], v[172:173], s[0:1]
	v_add_f64 v[2:3], v[34:35], v[2:3]
	v_add_f64 v[0:1], v[32:33], v[0:1]
	;; [unrolled: 1-line block ×4, first 2 shown]
	v_add_f64 v[16:17], v[16:17], -v[128:129]
	v_add_f64 v[18:19], v[168:169], v[18:19]
	v_add_f64 v[28:29], v[28:29], -v[124:125]
	v_add_f64 v[30:31], v[126:127], v[30:31]
	v_add_f64 v[6:7], v[6:7], v[22:23]
	;; [unrolled: 1-line block ×3, first 2 shown]
	v_add_f64 v[22:23], v[24:25], -v[186:187]
	v_add_f64 v[20:21], v[190:191], v[26:27]
	v_add_f64 v[14:15], v[14:15], v[2:3]
	;; [unrolled: 1-line block ×9, first 2 shown]
	s_clause 0x3
	buffer_load_dword v13, off, s[40:43], 0 offset:112
	buffer_load_dword v14, off, s[40:43], 0 offset:116
	;; [unrolled: 1-line block ×4, first 2 shown]
	v_mul_u32_u24_e32 v12, 11, v158
	v_lshlrev_b32_e32 v12, 4, v12
	v_add_f64 v[2:3], v[20:21], v[8:9]
	v_add_f64 v[0:1], v[22:23], v[10:11]
	;; [unrolled: 1-line block ×4, first 2 shown]
	s_waitcnt vmcnt(0)
	ds_write_b128 v12, v[13:16] offset:48
	s_clause 0x3
	buffer_load_dword v13, off, s[40:43], 0 offset:96
	buffer_load_dword v14, off, s[40:43], 0 offset:100
	buffer_load_dword v15, off, s[40:43], 0 offset:104
	buffer_load_dword v16, off, s[40:43], 0 offset:108
	s_waitcnt vmcnt(0)
	ds_write_b128 v12, v[13:16] offset:64
	s_clause 0x3
	buffer_load_dword v13, off, s[40:43], 0 offset:80
	buffer_load_dword v14, off, s[40:43], 0 offset:84
	buffer_load_dword v15, off, s[40:43], 0 offset:88
	buffer_load_dword v16, off, s[40:43], 0 offset:92
	;; [unrolled: 7-line block ×6, first 2 shown]
	s_waitcnt vmcnt(0)
	ds_write_b128 v12, v[13:16] offset:144
	ds_write_b128 v12, v[4:7] offset:16
	;; [unrolled: 1-line block ×3, first 2 shown]
	ds_write_b128 v12, v[8:11]
	s_clause 0x3
	buffer_load_dword v0, off, s[40:43], 0
	buffer_load_dword v1, off, s[40:43], 0 offset:4
	buffer_load_dword v2, off, s[40:43], 0 offset:8
	;; [unrolled: 1-line block ×3, first 2 shown]
	s_waitcnt vmcnt(0)
	ds_write_b128 v12, v[0:3] offset:160
.LBB0_7:
	s_or_b32 exec_lo, exec_lo, s20
	v_and_b32_e32 v0, 0xff, v250
	v_add_co_u32 v110, null, 0xdc, v250
	v_mov_b32_e32 v1, 0xba2f
	v_and_b32_e32 v3, 0xff, v159
	v_mul_lo_u16 v0, 0x75, v0
	s_waitcnt lgkmcnt(0)
	s_waitcnt_vscnt null, 0x0
	s_barrier
	v_mul_u32_u24_sdwa v1, v110, v1 dst_sel:DWORD dst_unused:UNUSED_PAD src0_sel:WORD_0 src1_sel:DWORD
	buffer_gl0_inv
	v_lshrrev_b16 v0, 8, v0
	v_and_b32_e32 v93, 0xff, v158
	s_mov_b32 s16, 0x134454ff
	v_lshrrev_b32_e32 v94, 19, v1
	s_mov_b32 s17, 0x3fee6f0e
	v_sub_nc_u16 v1, v250, v0
	s_mov_b32 s19, 0xbfee6f0e
	s_mov_b32 s18, s16
	v_mul_lo_u16 v2, v94, 11
	s_mov_b32 s4, 0x4755a5e
	v_lshrrev_b16 v1, 1, v1
	s_mov_b32 s5, 0x3fe2cf23
	s_mov_b32 s13, 0xbfe2cf23
	v_sub_nc_u16 v95, v110, v2
	v_mul_lo_u16 v2, 0x75, v3
	v_and_b32_e32 v1, 0x7f, v1
	s_mov_b32 s12, s4
	s_mov_b32 s20, 0x372fe950
	v_lshlrev_b16 v3, 2, v95
	v_lshrrev_b16 v2, 8, v2
	v_add_nc_u16 v0, v1, v0
	s_mov_b32 s21, 0x3fd3c6ef
	v_lshlrev_b32_sdwa v1, v178, v3 dst_sel:DWORD dst_unused:UNUSED_PAD src0_sel:DWORD src1_sel:WORD_0
	v_sub_nc_u16 v3, v159, v2
	v_lshrrev_b16 v100, 3, v0
	s_clause 0x3
	global_load_dwordx4 v[72:75], v1, s[2:3]
	global_load_dwordx4 v[60:63], v1, s[2:3] offset:16
	global_load_dwordx4 v[68:71], v1, s[2:3] offset:32
	;; [unrolled: 1-line block ×3, first 2 shown]
	v_lshrrev_b16 v0, 1, v3
	v_mul_lo_u16 v3, v100, 11
	v_and_b32_e32 v0, 0x7f, v0
	v_sub_nc_u16 v3, v250, v3
	v_add_nc_u16 v0, v0, v2
	v_and_b32_e32 v101, 0xff, v3
	v_lshrrev_b16 v96, 3, v0
	v_lshlrev_b32_e32 v1, 6, v101
	v_mul_lo_u16 v0, v96, 11
	s_clause 0x3
	global_load_dwordx4 v[115:118], v1, s[2:3]
	global_load_dwordx4 v[111:114], v1, s[2:3] offset:16
	global_load_dwordx4 v[106:109], v1, s[2:3] offset:32
	;; [unrolled: 1-line block ×3, first 2 shown]
	v_sub_nc_u16 v0, v159, v0
	v_and_b32_e32 v97, 0xff, v0
	v_lshlrev_b32_e32 v0, 6, v97
	s_clause 0x3
	global_load_dwordx4 v[80:83], v0, s[2:3]
	global_load_dwordx4 v[84:87], v0, s[2:3] offset:16
	global_load_dwordx4 v[88:91], v0, s[2:3] offset:32
	;; [unrolled: 1-line block ×3, first 2 shown]
	ds_read_b128 v[0:3], v194 offset:7920
	ds_read_b128 v[4:7], v194 offset:12320
	;; [unrolled: 1-line block ×9, first 2 shown]
	s_waitcnt vmcnt(11) lgkmcnt(8)
	v_mul_f64 v[8:9], v[2:3], v[74:75]
	s_waitcnt vmcnt(10) lgkmcnt(7)
	v_mul_f64 v[12:13], v[6:7], v[62:63]
	;; [unrolled: 2-line block ×3, first 2 shown]
	v_mul_f64 v[10:11], v[0:1], v[74:75]
	v_mul_f64 v[16:17], v[4:5], v[62:63]
	;; [unrolled: 1-line block ×3, first 2 shown]
	s_waitcnt vmcnt(8) lgkmcnt(5)
	v_mul_f64 v[38:39], v[24:25], v[66:67]
	v_mul_f64 v[52:53], v[22:23], v[66:67]
	v_fma_f64 v[8:9], v[0:1], v[72:73], -v[8:9]
	buffer_store_dword v72, off, s[40:43], 0 offset:616 ; 4-byte Folded Spill
	buffer_store_dword v73, off, s[40:43], 0 offset:620 ; 4-byte Folded Spill
	buffer_store_dword v74, off, s[40:43], 0 offset:624 ; 4-byte Folded Spill
	buffer_store_dword v75, off, s[40:43], 0 offset:628 ; 4-byte Folded Spill
	v_fma_f64 v[14:15], v[4:5], v[60:61], -v[12:13]
	buffer_store_dword v60, off, s[40:43], 0 offset:600 ; 4-byte Folded Spill
	buffer_store_dword v61, off, s[40:43], 0 offset:604 ; 4-byte Folded Spill
	buffer_store_dword v62, off, s[40:43], 0 offset:608 ; 4-byte Folded Spill
	buffer_store_dword v63, off, s[40:43], 0 offset:612 ; 4-byte Folded Spill
	;; [unrolled: 5-line block ×3, first 2 shown]
	s_waitcnt vmcnt(7) lgkmcnt(4)
	v_mul_f64 v[54:55], v[28:29], v[117:118]
	s_waitcnt vmcnt(6) lgkmcnt(3)
	v_mul_f64 v[4:5], v[36:37], v[113:114]
	v_fma_f64 v[22:23], v[22:23], v[64:65], -v[38:39]
	v_mul_f64 v[56:57], v[26:27], v[117:118]
	v_mul_f64 v[58:59], v[34:35], v[113:114]
	s_waitcnt vmcnt(5) lgkmcnt(2)
	v_mul_f64 v[62:63], v[40:41], v[108:109]
	v_fma_f64 v[38:39], v[34:35], v[111:112], -v[4:5]
	v_fma_f64 v[10:11], v[2:3], v[72:73], v[10:11]
	ds_read_b128 v[0:3], v194 offset:9680
	v_fma_f64 v[16:17], v[6:7], v[60:61], v[16:17]
	v_mul_f64 v[60:61], v[42:43], v[108:109]
	buffer_store_dword v64, off, s[40:43], 0 offset:568 ; 4-byte Folded Spill
	buffer_store_dword v65, off, s[40:43], 0 offset:572 ; 4-byte Folded Spill
	;; [unrolled: 1-line block ×4, first 2 shown]
	v_fma_f64 v[12:13], v[20:21], v[68:69], v[32:33]
	v_fma_f64 v[32:33], v[26:27], v[115:116], -v[54:55]
	buffer_store_dword v115, off, s[40:43], 0 offset:744 ; 4-byte Folded Spill
	buffer_store_dword v116, off, s[40:43], 0 offset:748 ; 4-byte Folded Spill
	;; [unrolled: 1-line block ×8, first 2 shown]
	ds_read_b128 v[4:7], v194 offset:14080
	s_waitcnt vmcnt(3) lgkmcnt(2)
	v_mul_f64 v[26:27], v[50:51], v[82:83]
	v_mul_f64 v[54:55], v[48:49], v[82:83]
	v_add_f64 v[118:119], v[14:15], -v[8:9]
	v_fma_f64 v[34:35], v[40:41], v[106:107], -v[60:61]
	buffer_store_dword v106, off, s[40:43], 0 offset:712 ; 4-byte Folded Spill
	buffer_store_dword v107, off, s[40:43], 0 offset:716 ; 4-byte Folded Spill
	;; [unrolled: 1-line block ×4, first 2 shown]
	v_add_f64 v[120:121], v[38:39], -v[34:35]
	v_fma_f64 v[20:21], v[24:25], v[64:65], v[52:53]
	v_mul_f64 v[24:25], v[46:47], v[104:105]
	v_mul_f64 v[52:53], v[44:45], v[104:105]
	v_fma_f64 v[28:29], v[28:29], v[115:116], v[56:57]
	s_waitcnt vmcnt(2) lgkmcnt(1)
	v_mul_f64 v[56:57], v[2:3], v[86:87]
	v_fma_f64 v[36:37], v[36:37], v[111:112], v[58:59]
	v_mul_f64 v[58:59], v[0:1], v[86:87]
	v_add_co_u32 v111, null, 0xa5, v250
	v_add_f64 v[114:115], v[8:9], -v[22:23]
	v_add_f64 v[112:113], v[16:17], -v[12:13]
	;; [unrolled: 1-line block ×3, first 2 shown]
	v_and_b32_e32 v92, 0xff, v111
	v_fma_f64 v[30:31], v[42:43], v[106:107], v[62:63]
	v_fma_f64 v[42:43], v[44:45], v[102:103], -v[24:25]
	buffer_store_dword v102, off, s[40:43], 0 offset:696 ; 4-byte Folded Spill
	buffer_store_dword v103, off, s[40:43], 0 offset:700 ; 4-byte Folded Spill
	;; [unrolled: 1-line block ×4, first 2 shown]
	v_mul_lo_u16 v24, 0x75, v93
	v_add_f64 v[108:109], v[10:11], -v[20:21]
	v_fma_f64 v[40:41], v[46:47], v[102:103], v[52:53]
	v_fma_f64 v[46:47], v[48:49], v[80:81], -v[26:27]
	buffer_store_dword v80, off, s[40:43], 0 offset:680 ; 4-byte Folded Spill
	buffer_store_dword v81, off, s[40:43], 0 offset:684 ; 4-byte Folded Spill
	;; [unrolled: 1-line block ×4, first 2 shown]
	v_lshrrev_b16 v52, 8, v24
	ds_read_b128 v[24:27], v194 offset:18480
	v_fma_f64 v[82:83], v[0:1], v[84:85], -v[56:57]
	buffer_store_dword v84, off, s[40:43], 0 offset:664 ; 4-byte Folded Spill
	buffer_store_dword v85, off, s[40:43], 0 offset:668 ; 4-byte Folded Spill
	;; [unrolled: 1-line block ×4, first 2 shown]
	s_waitcnt vmcnt(1) lgkmcnt(1)
	v_mul_f64 v[48:49], v[6:7], v[90:91]
	v_mul_f64 v[0:1], v[4:5], v[90:91]
	v_add_f64 v[126:127], v[82:83], -v[46:47]
	v_fma_f64 v[86:87], v[4:5], v[88:89], -v[48:49]
	buffer_store_dword v88, off, s[40:43], 0 offset:648 ; 4-byte Folded Spill
	buffer_store_dword v89, off, s[40:43], 0 offset:652 ; 4-byte Folded Spill
	;; [unrolled: 1-line block ×4, first 2 shown]
	v_add_f64 v[124:125], v[82:83], -v[86:87]
	v_fma_f64 v[44:45], v[50:51], v[80:81], v[54:55]
	v_sub_nc_u16 v50, v158, v52
	v_fma_f64 v[80:81], v[2:3], v[84:85], v[58:59]
	v_lshrrev_b16 v2, 1, v50
	v_and_b32_e32 v2, 0x7f, v2
	v_add_nc_u16 v2, v2, v52
	v_lshrrev_b16 v98, 3, v2
	s_waitcnt vmcnt(0) lgkmcnt(0)
	v_mul_f64 v[2:3], v[26:27], v[78:79]
	v_mul_lo_u16 v4, v98, 11
	v_fma_f64 v[84:85], v[6:7], v[88:89], v[0:1]
	v_mul_f64 v[0:1], v[24:25], v[78:79]
	v_sub_nc_u16 v4, v158, v4
	v_and_b32_e32 v99, 0xff, v4
	v_lshlrev_b32_e32 v6, 6, v99
	v_fma_f64 v[90:91], v[24:25], v[76:77], -v[2:3]
	buffer_store_dword v76, off, s[40:43], 0 offset:632 ; 4-byte Folded Spill
	buffer_store_dword v77, off, s[40:43], 0 offset:636 ; 4-byte Folded Spill
	;; [unrolled: 1-line block ×4, first 2 shown]
	v_add_f64 v[122:123], v[46:47], -v[90:91]
	v_fma_f64 v[88:89], v[26:27], v[76:77], v[0:1]
	global_load_dwordx4 v[24:27], v6, s[2:3]
	ds_read_b128 v[0:3], v194 offset:6160
	s_waitcnt vmcnt(0) lgkmcnt(0)
	v_mul_f64 v[4:5], v[2:3], v[26:27]
	v_fma_f64 v[66:67], v[0:1], v[24:25], -v[4:5]
	v_mul_f64 v[0:1], v[0:1], v[26:27]
	buffer_store_dword v24, off, s[40:43], 0 offset:760 ; 4-byte Folded Spill
	buffer_store_dword v25, off, s[40:43], 0 offset:764 ; 4-byte Folded Spill
	buffer_store_dword v26, off, s[40:43], 0 offset:768 ; 4-byte Folded Spill
	buffer_store_dword v27, off, s[40:43], 0 offset:772 ; 4-byte Folded Spill
	v_fma_f64 v[64:65], v[2:3], v[24:25], v[0:1]
	global_load_dwordx4 v[24:27], v6, s[2:3] offset:16
	ds_read_b128 v[0:3], v194 offset:10560
	s_waitcnt vmcnt(0) lgkmcnt(0)
	v_mul_f64 v[4:5], v[2:3], v[26:27]
	v_fma_f64 v[68:69], v[0:1], v[24:25], -v[4:5]
	v_mul_f64 v[0:1], v[0:1], v[26:27]
	buffer_store_dword v24, off, s[40:43], 0 offset:776 ; 4-byte Folded Spill
	buffer_store_dword v25, off, s[40:43], 0 offset:780 ; 4-byte Folded Spill
	;; [unrolled: 1-line block ×4, first 2 shown]
	v_add_f64 v[130:131], v[68:69], -v[66:67]
	v_fma_f64 v[70:71], v[2:3], v[24:25], v[0:1]
	global_load_dwordx4 v[24:27], v6, s[2:3] offset:32
	ds_read_b128 v[0:3], v194 offset:14960
	s_waitcnt vmcnt(0) lgkmcnt(0)
	v_mul_f64 v[4:5], v[2:3], v[26:27]
	v_fma_f64 v[74:75], v[0:1], v[24:25], -v[4:5]
	v_mul_f64 v[0:1], v[0:1], v[26:27]
	buffer_store_dword v24, off, s[40:43], 0 offset:792 ; 4-byte Folded Spill
	buffer_store_dword v25, off, s[40:43], 0 offset:796 ; 4-byte Folded Spill
	;; [unrolled: 1-line block ×4, first 2 shown]
	v_add_f64 v[128:129], v[68:69], -v[74:75]
	v_fma_f64 v[72:73], v[2:3], v[24:25], v[0:1]
	global_load_dwordx4 v[24:27], v6, s[2:3] offset:48
	ds_read_b128 v[0:3], v194 offset:19360
	s_waitcnt vmcnt(0) lgkmcnt(0)
	v_mul_f64 v[4:5], v[2:3], v[26:27]
	v_fma_f64 v[76:77], v[0:1], v[24:25], -v[4:5]
	v_mul_f64 v[0:1], v[0:1], v[26:27]
	buffer_store_dword v24, off, s[40:43], 0 offset:808 ; 4-byte Folded Spill
	buffer_store_dword v25, off, s[40:43], 0 offset:812 ; 4-byte Folded Spill
	buffer_store_dword v26, off, s[40:43], 0 offset:816 ; 4-byte Folded Spill
	buffer_store_dword v27, off, s[40:43], 0 offset:820 ; 4-byte Folded Spill
	v_fma_f64 v[78:79], v[2:3], v[24:25], v[0:1]
	v_mul_lo_u16 v0, 0x75, v92
	v_lshrrev_b16 v0, 8, v0
	v_sub_nc_u16 v1, v111, v0
	v_lshrrev_b16 v1, 1, v1
	v_and_b32_e32 v1, 0x7f, v1
	v_add_nc_u16 v0, v1, v0
	v_lshrrev_b16 v102, 3, v0
	v_mul_lo_u16 v0, v102, 11
	v_sub_nc_u16 v0, v111, v0
	v_and_b32_e32 v103, 0xff, v0
	ds_read_b128 v[0:3], v194 offset:7040
	v_lshlrev_b32_e32 v6, 6, v103
	global_load_dwordx4 v[24:27], v6, s[2:3]
	s_waitcnt vmcnt(0) lgkmcnt(0)
	v_mul_f64 v[4:5], v[2:3], v[26:27]
	v_fma_f64 v[50:51], v[0:1], v[24:25], -v[4:5]
	v_mul_f64 v[0:1], v[0:1], v[26:27]
	buffer_store_dword v24, off, s[40:43], 0 offset:824 ; 4-byte Folded Spill
	buffer_store_dword v25, off, s[40:43], 0 offset:828 ; 4-byte Folded Spill
	buffer_store_dword v26, off, s[40:43], 0 offset:832 ; 4-byte Folded Spill
	buffer_store_dword v27, off, s[40:43], 0 offset:836 ; 4-byte Folded Spill
	v_fma_f64 v[48:49], v[2:3], v[24:25], v[0:1]
	global_load_dwordx4 v[24:27], v6, s[2:3] offset:16
	ds_read_b128 v[0:3], v194 offset:11440
	s_waitcnt vmcnt(0) lgkmcnt(0)
	v_mul_f64 v[4:5], v[2:3], v[26:27]
	v_fma_f64 v[52:53], v[0:1], v[24:25], -v[4:5]
	v_mul_f64 v[0:1], v[0:1], v[26:27]
	buffer_store_dword v24, off, s[40:43], 0 offset:840 ; 4-byte Folded Spill
	buffer_store_dword v25, off, s[40:43], 0 offset:844 ; 4-byte Folded Spill
	buffer_store_dword v26, off, s[40:43], 0 offset:848 ; 4-byte Folded Spill
	buffer_store_dword v27, off, s[40:43], 0 offset:852 ; 4-byte Folded Spill
	v_fma_f64 v[54:55], v[2:3], v[24:25], v[0:1]
	global_load_dwordx4 v[24:27], v6, s[2:3] offset:32
	ds_read_b128 v[0:3], v194 offset:15840
	;; [unrolled: 11-line block ×3, first 2 shown]
	s_waitcnt vmcnt(0) lgkmcnt(0)
	v_mul_f64 v[4:5], v[2:3], v[26:27]
	v_fma_f64 v[60:61], v[0:1], v[24:25], -v[4:5]
	v_mul_f64 v[0:1], v[0:1], v[26:27]
	buffer_store_dword v24, off, s[40:43], 0 offset:872 ; 4-byte Folded Spill
	buffer_store_dword v25, off, s[40:43], 0 offset:876 ; 4-byte Folded Spill
	buffer_store_dword v26, off, s[40:43], 0 offset:880 ; 4-byte Folded Spill
	buffer_store_dword v27, off, s[40:43], 0 offset:884 ; 4-byte Folded Spill
	v_fma_f64 v[62:63], v[2:3], v[24:25], v[0:1]
	v_add_f64 v[0:1], v[8:9], -v[14:15]
	v_add_f64 v[2:3], v[22:23], -v[18:19]
	ds_read_b128 v[24:27], v194 offset:3520
	v_add_f64 v[4:5], v[0:1], v[2:3]
	v_add_f64 v[0:1], v[10:11], -v[16:17]
	v_add_f64 v[2:3], v[20:21], -v[12:13]
	v_add_f64 v[6:7], v[0:1], v[2:3]
	v_add_f64 v[0:1], v[14:15], v[18:19]
	s_waitcnt lgkmcnt(0)
	v_fma_f64 v[104:105], v[0:1], -0.5, v[24:25]
	v_add_f64 v[0:1], v[16:17], v[12:13]
	v_fma_f64 v[106:107], v[0:1], -0.5, v[26:27]
	v_fma_f64 v[0:1], v[108:109], s[16:17], v[104:105]
	v_fma_f64 v[104:105], v[108:109], s[18:19], v[104:105]
	;; [unrolled: 1-line block ×10, first 2 shown]
	v_add_f64 v[104:105], v[8:9], v[22:23]
	v_fma_f64 v[2:3], v[6:7], s[20:21], v[2:3]
	v_fma_f64 v[6:7], v[6:7], s[20:21], v[106:107]
	v_add_f64 v[106:107], v[10:11], v[20:21]
	v_fma_f64 v[104:105], v[104:105], -0.5, v[24:25]
	v_add_f64 v[24:25], v[24:25], v[8:9]
	v_fma_f64 v[106:107], v[106:107], -0.5, v[26:27]
	v_add_f64 v[26:27], v[26:27], v[10:11]
	v_add_f64 v[8:9], v[24:25], v[14:15]
	v_fma_f64 v[24:25], v[116:117], s[18:19], v[106:107]
	v_add_f64 v[14:15], v[26:27], v[16:17]
	v_add_f64 v[16:17], v[16:17], -v[10:11]
	v_add_f64 v[8:9], v[8:9], v[18:19]
	v_add_f64 v[10:11], v[14:15], v[12:13]
	v_add_f64 v[14:15], v[18:19], -v[22:23]
	v_add_f64 v[8:9], v[8:9], v[22:23]
	v_add_f64 v[12:13], v[12:13], -v[20:21]
	v_fma_f64 v[22:23], v[116:117], s[16:17], v[106:107]
	v_fma_f64 v[18:19], v[112:113], s[18:19], v[104:105]
	v_add_f64 v[116:117], v[36:37], -v[30:31]
	v_add_f64 v[10:11], v[10:11], v[20:21]
	v_fma_f64 v[20:21], v[112:113], s[16:17], v[104:105]
	v_add_f64 v[26:27], v[118:119], v[14:15]
	v_add_f64 v[104:105], v[16:17], v[12:13]
	v_fma_f64 v[14:15], v[114:115], s[12:13], v[22:23]
	v_add_f64 v[22:23], v[42:43], -v[34:35]
	v_fma_f64 v[12:13], v[108:109], s[4:5], v[18:19]
	v_fma_f64 v[18:19], v[114:115], s[4:5], v[24:25]
	v_add_f64 v[114:115], v[28:29], -v[40:41]
	v_add_f64 v[118:119], v[32:33], -v[42:43]
	v_fma_f64 v[16:17], v[108:109], s[12:13], v[20:21]
	v_add_f64 v[20:21], v[32:33], -v[38:39]
	v_fma_f64 v[14:15], v[104:105], s[20:21], v[14:15]
	v_fma_f64 v[12:13], v[26:27], s[20:21], v[12:13]
	;; [unrolled: 1-line block ×3, first 2 shown]
	ds_read_b128 v[104:107], v194
	v_fma_f64 v[16:17], v[26:27], s[20:21], v[16:17]
	v_add_f64 v[24:25], v[20:21], v[22:23]
	v_add_f64 v[20:21], v[28:29], -v[36:37]
	v_add_f64 v[22:23], v[40:41], -v[30:31]
	v_add_f64 v[26:27], v[20:21], v[22:23]
	v_add_f64 v[20:21], v[38:39], v[34:35]
	s_waitcnt lgkmcnt(0)
	v_fma_f64 v[108:109], v[20:21], -0.5, v[104:105]
	v_add_f64 v[20:21], v[36:37], v[30:31]
	v_fma_f64 v[112:113], v[20:21], -0.5, v[106:107]
	v_fma_f64 v[20:21], v[114:115], s[16:17], v[108:109]
	v_fma_f64 v[108:109], v[114:115], s[18:19], v[108:109]
	;; [unrolled: 1-line block ×10, first 2 shown]
	v_add_f64 v[108:109], v[32:33], v[42:43]
	v_fma_f64 v[22:23], v[26:27], s[20:21], v[22:23]
	v_fma_f64 v[26:27], v[26:27], s[20:21], v[112:113]
	v_add_f64 v[112:113], v[28:29], v[40:41]
	v_fma_f64 v[108:109], v[108:109], -0.5, v[104:105]
	v_add_f64 v[104:105], v[104:105], v[32:33]
	v_add_f64 v[32:33], v[38:39], -v[32:33]
	v_fma_f64 v[112:113], v[112:113], -0.5, v[106:107]
	v_add_f64 v[106:107], v[106:107], v[28:29]
	v_add_f64 v[28:29], v[36:37], -v[28:29]
	v_add_f64 v[38:39], v[104:105], v[38:39]
	v_add_f64 v[104:105], v[106:107], v[36:37]
	;; [unrolled: 1-line block ×3, first 2 shown]
	v_add_f64 v[34:35], v[34:35], -v[42:43]
	v_add_f64 v[38:39], v[104:105], v[30:31]
	v_add_f64 v[30:31], v[30:31], -v[40:41]
	v_add_f64 v[104:105], v[36:37], v[42:43]
	v_fma_f64 v[36:37], v[116:117], s[18:19], v[108:109]
	v_fma_f64 v[42:43], v[120:121], s[18:19], v[112:113]
	v_add_f64 v[32:33], v[32:33], v[34:35]
	v_add_f64 v[106:107], v[38:39], v[40:41]
	v_fma_f64 v[38:39], v[116:117], s[16:17], v[108:109]
	v_fma_f64 v[40:41], v[120:121], s[16:17], v[112:113]
	v_add_f64 v[34:35], v[28:29], v[30:31]
	v_fma_f64 v[28:29], v[114:115], s[4:5], v[36:37]
	v_add_f64 v[120:121], v[80:81], -v[84:85]
	v_fma_f64 v[36:37], v[114:115], s[12:13], v[38:39]
	v_fma_f64 v[30:31], v[118:119], s[12:13], v[40:41]
	;; [unrolled: 1-line block ×4, first 2 shown]
	ds_read_b128 v[112:115], v194 offset:880
	v_add_f64 v[118:119], v[44:45], -v[88:89]
	v_fma_f64 v[32:33], v[32:33], s[20:21], v[36:37]
	v_fma_f64 v[30:31], v[34:35], s[20:21], v[30:31]
	;; [unrolled: 1-line block ×3, first 2 shown]
	v_add_f64 v[36:37], v[46:47], -v[82:83]
	v_add_f64 v[38:39], v[90:91], -v[86:87]
	v_add_f64 v[40:41], v[36:37], v[38:39]
	v_add_f64 v[36:37], v[44:45], -v[80:81]
	v_add_f64 v[38:39], v[88:89], -v[84:85]
	v_add_f64 v[42:43], v[36:37], v[38:39]
	v_add_f64 v[36:37], v[82:83], v[86:87]
	s_waitcnt lgkmcnt(0)
	v_fma_f64 v[108:109], v[36:37], -0.5, v[112:113]
	v_add_f64 v[36:37], v[80:81], v[84:85]
	v_fma_f64 v[116:117], v[36:37], -0.5, v[114:115]
	v_fma_f64 v[36:37], v[118:119], s[16:17], v[108:109]
	v_fma_f64 v[108:109], v[118:119], s[18:19], v[108:109]
	;; [unrolled: 1-line block ×10, first 2 shown]
	v_add_f64 v[108:109], v[46:47], v[90:91]
	v_fma_f64 v[38:39], v[42:43], s[20:21], v[38:39]
	v_fma_f64 v[42:43], v[42:43], s[20:21], v[116:117]
	v_add_f64 v[116:117], v[44:45], v[88:89]
	v_fma_f64 v[108:109], v[108:109], -0.5, v[112:113]
	v_add_f64 v[112:113], v[112:113], v[46:47]
	v_fma_f64 v[116:117], v[116:117], -0.5, v[114:115]
	v_add_f64 v[114:115], v[114:115], v[44:45]
	v_add_f64 v[46:47], v[112:113], v[82:83]
	;; [unrolled: 1-line block ×3, first 2 shown]
	v_add_f64 v[80:81], v[80:81], -v[44:45]
	v_add_f64 v[44:45], v[46:47], v[86:87]
	v_add_f64 v[46:47], v[82:83], v[84:85]
	v_add_f64 v[82:83], v[86:87], -v[90:91]
	v_add_f64 v[44:45], v[44:45], v[90:91]
	v_add_f64 v[84:85], v[84:85], -v[88:89]
	v_fma_f64 v[90:91], v[124:125], s[16:17], v[116:117]
	v_fma_f64 v[86:87], v[120:121], s[18:19], v[108:109]
	v_add_f64 v[46:47], v[46:47], v[88:89]
	v_fma_f64 v[88:89], v[120:121], s[16:17], v[108:109]
	v_fma_f64 v[108:109], v[124:125], s[18:19], v[116:117]
	v_add_f64 v[112:113], v[126:127], v[82:83]
	v_add_f64 v[114:115], v[80:81], v[84:85]
	v_fma_f64 v[82:83], v[122:123], s[12:13], v[90:91]
	v_add_f64 v[90:91], v[76:77], -v[74:75]
	v_fma_f64 v[80:81], v[118:119], s[4:5], v[86:87]
	v_add_f64 v[124:125], v[70:71], -v[72:73]
	v_add_f64 v[126:127], v[66:67], -v[76:77]
	v_fma_f64 v[84:85], v[118:119], s[12:13], v[88:89]
	v_add_f64 v[88:89], v[66:67], -v[68:69]
	v_fma_f64 v[86:87], v[122:123], s[4:5], v[108:109]
	;; [unrolled: 2-line block ×3, first 2 shown]
	v_fma_f64 v[80:81], v[112:113], s[20:21], v[80:81]
	v_fma_f64 v[84:85], v[112:113], s[20:21], v[84:85]
	v_add_f64 v[108:109], v[88:89], v[90:91]
	v_add_f64 v[88:89], v[64:65], -v[70:71]
	v_add_f64 v[90:91], v[78:79], -v[72:73]
	v_add_f64 v[112:113], v[68:69], v[74:75]
	v_fma_f64 v[86:87], v[114:115], s[20:21], v[86:87]
	v_add_f64 v[118:119], v[88:89], v[90:91]
	ds_read_b128 v[88:91], v194 offset:1760
	s_waitcnt lgkmcnt(0)
	v_fma_f64 v[116:117], v[112:113], -0.5, v[88:89]
	v_add_f64 v[112:113], v[70:71], v[72:73]
	v_fma_f64 v[120:121], v[112:113], -0.5, v[90:91]
	v_fma_f64 v[112:113], v[122:123], s[16:17], v[116:117]
	v_fma_f64 v[116:117], v[122:123], s[18:19], v[116:117]
	;; [unrolled: 1-line block ×10, first 2 shown]
	v_add_f64 v[108:109], v[66:67], v[76:77]
	v_fma_f64 v[114:115], v[118:119], s[20:21], v[114:115]
	v_fma_f64 v[118:119], v[118:119], s[20:21], v[120:121]
	v_add_f64 v[120:121], v[64:65], v[78:79]
	v_fma_f64 v[108:109], v[108:109], -0.5, v[88:89]
	v_add_f64 v[88:89], v[88:89], v[66:67]
	v_fma_f64 v[120:121], v[120:121], -0.5, v[90:91]
	v_add_f64 v[90:91], v[90:91], v[64:65]
	v_add_f64 v[66:67], v[88:89], v[68:69]
	v_fma_f64 v[88:89], v[128:129], s[18:19], v[120:121]
	v_add_f64 v[68:69], v[90:91], v[70:71]
	v_add_f64 v[70:71], v[70:71], -v[64:65]
	v_add_f64 v[64:65], v[66:67], v[74:75]
	v_add_f64 v[66:67], v[68:69], v[72:73]
	v_add_f64 v[68:69], v[74:75], -v[76:77]
	v_add_f64 v[64:65], v[64:65], v[76:77]
	v_add_f64 v[72:73], v[72:73], -v[78:79]
	v_fma_f64 v[74:75], v[124:125], s[18:19], v[108:109]
	v_fma_f64 v[76:77], v[124:125], s[16:17], v[108:109]
	v_add_f64 v[124:125], v[50:51], -v[60:61]
	v_add_f64 v[66:67], v[66:67], v[78:79]
	v_add_f64 v[90:91], v[130:131], v[68:69]
	v_mov_b32_e32 v130, 55
	v_add_f64 v[108:109], v[70:71], v[72:73]
	v_fma_f64 v[68:69], v[122:123], s[4:5], v[74:75]
	v_fma_f64 v[72:73], v[122:123], s[12:13], v[76:77]
	;; [unrolled: 1-line block ×3, first 2 shown]
	v_add_f64 v[88:89], v[50:51], -v[52:53]
	v_mul_u32_u24_sdwa v76, v100, v130 dst_sel:DWORD dst_unused:UNUSED_PAD src0_sel:WORD_0 src1_sel:DWORD
	v_fma_f64 v[78:79], v[128:129], s[16:17], v[120:121]
	v_add_f64 v[120:121], v[48:49], -v[62:63]
	v_add_f64 v[122:123], v[54:55], -v[56:57]
	;; [unrolled: 1-line block ×3, first 2 shown]
	v_add_lshl_u32 v131, v76, v101, 4
	v_mov_b32_e32 v251, v131
	v_fma_f64 v[68:69], v[90:91], s[20:21], v[68:69]
	v_fma_f64 v[72:73], v[90:91], s[20:21], v[72:73]
	v_add_f64 v[90:91], v[60:61], -v[58:59]
	v_fma_f64 v[74:75], v[108:109], s[20:21], v[74:75]
	v_fma_f64 v[70:71], v[126:127], s[12:13], v[78:79]
	ds_read_b128 v[76:79], v194 offset:2640
	s_waitcnt lgkmcnt(0)
	s_waitcnt_vscnt null, 0x0
	s_barrier
	buffer_gl0_inv
	ds_write_b128 v131, v[104:107]
	v_add_f64 v[126:127], v[52:53], -v[58:59]
	ds_write_b128 v131, v[20:23] offset:176
	ds_write_b128 v131, v[28:31] offset:352
	;; [unrolled: 1-line block ×3, first 2 shown]
	v_mul_u32_u24_sdwa v20, v96, v130 dst_sel:DWORD dst_unused:UNUSED_PAD src0_sel:WORD_0 src1_sel:DWORD
	ds_write_b128 v131, v[24:27] offset:704
	v_add_lshl_u32 v20, v20, v97, 4
	ds_write_b128 v20, v[44:47]
	ds_write_b128 v20, v[36:39] offset:176
	ds_write_b128 v20, v[80:83] offset:352
	ds_write_b128 v20, v[84:87] offset:528
	v_add_f64 v[100:101], v[88:89], v[90:91]
	v_add_f64 v[88:89], v[48:49], -v[54:55]
	v_add_f64 v[90:91], v[62:63], -v[56:57]
	v_fma_f64 v[70:71], v[108:109], s[20:21], v[70:71]
	buffer_store_dword v20, off, s[40:43], 0 offset:900 ; 4-byte Folded Spill
	ds_write_b128 v20, v[40:43] offset:704
	v_mul_u32_u24_sdwa v20, v98, v130 dst_sel:DWORD dst_unused:UNUSED_PAD src0_sel:WORD_0 src1_sel:DWORD
	v_add_lshl_u32 v20, v20, v99, 4
	ds_write_b128 v20, v[64:67]
	ds_write_b128 v20, v[112:115] offset:176
	ds_write_b128 v20, v[68:71] offset:352
	;; [unrolled: 1-line block ×3, first 2 shown]
	v_add_f64 v[106:107], v[88:89], v[90:91]
	v_add_f64 v[88:89], v[52:53], v[58:59]
	buffer_store_dword v20, off, s[40:43], 0 offset:892 ; 4-byte Folded Spill
	ds_write_b128 v20, v[116:119] offset:704
	v_mul_u32_u24_sdwa v20, v102, v130 dst_sel:DWORD dst_unused:UNUSED_PAD src0_sel:WORD_0 src1_sel:DWORD
	v_lshlrev_b32_e32 v112, 6, v250
	v_add_lshl_u32 v20, v20, v103, 4
	v_fma_f64 v[104:105], v[88:89], -0.5, v[76:77]
	v_add_f64 v[88:89], v[54:55], v[56:57]
	v_fma_f64 v[108:109], v[88:89], -0.5, v[78:79]
	v_fma_f64 v[88:89], v[120:121], s[16:17], v[104:105]
	v_fma_f64 v[104:105], v[120:121], s[18:19], v[104:105]
	;; [unrolled: 1-line block ×10, first 2 shown]
	v_add_f64 v[100:101], v[50:51], v[60:61]
	v_fma_f64 v[90:91], v[106:107], s[20:21], v[90:91]
	v_fma_f64 v[106:107], v[106:107], s[20:21], v[108:109]
	v_add_f64 v[108:109], v[48:49], v[62:63]
	v_fma_f64 v[100:101], v[100:101], -0.5, v[76:77]
	v_add_f64 v[76:77], v[76:77], v[50:51]
	v_fma_f64 v[108:109], v[108:109], -0.5, v[78:79]
	v_add_f64 v[78:79], v[78:79], v[48:49]
	v_add_f64 v[50:51], v[76:77], v[52:53]
	v_fma_f64 v[76:77], v[126:127], s[18:19], v[108:109]
	v_add_f64 v[52:53], v[78:79], v[54:55]
	v_add_f64 v[54:55], v[54:55], -v[48:49]
	v_add_f64 v[48:49], v[50:51], v[58:59]
	v_add_f64 v[50:51], v[52:53], v[56:57]
	v_add_f64 v[52:53], v[58:59], -v[60:61]
	v_add_f64 v[56:57], v[56:57], -v[62:63]
	v_fma_f64 v[58:59], v[122:123], s[18:19], v[100:101]
	v_add_f64 v[48:49], v[48:49], v[60:61]
	v_fma_f64 v[60:61], v[122:123], s[16:17], v[100:101]
	v_add_f64 v[50:51], v[50:51], v[62:63]
	;; [unrolled: 2-line block ×3, first 2 shown]
	v_add_f64 v[100:101], v[54:55], v[56:57]
	v_fma_f64 v[52:53], v[120:121], s[4:5], v[58:59]
	v_fma_f64 v[56:57], v[120:121], s[12:13], v[60:61]
	;; [unrolled: 1-line block ×8, first 2 shown]
	ds_write_b128 v20, v[48:51]
	ds_write_b128 v20, v[88:91] offset:176
	ds_write_b128 v20, v[52:55] offset:352
	;; [unrolled: 1-line block ×3, first 2 shown]
	buffer_store_dword v20, off, s[40:43], 0 offset:888 ; 4-byte Folded Spill
	ds_write_b128 v20, v[104:107] offset:704
	v_mad_u16 v20, v94, 55, v95
	v_lshlrev_b32_sdwa v20, v178, v20 dst_sel:DWORD dst_unused:UNUSED_PAD src0_sel:DWORD src1_sel:WORD_0
	ds_write_b128 v20, v[8:11]
	ds_write_b128 v20, v[0:3] offset:176
	ds_write_b128 v20, v[12:15] offset:352
	;; [unrolled: 1-line block ×3, first 2 shown]
	buffer_store_dword v20, off, s[40:43], 0 offset:896 ; 4-byte Folded Spill
	ds_write_b128 v20, v[4:7] offset:704
	s_waitcnt lgkmcnt(0)
	s_waitcnt_vscnt null, 0x0
	s_barrier
	buffer_gl0_inv
	s_clause 0x1
	global_load_dwordx4 v[212:215], v112, s[2:3] offset:704
	global_load_dwordx4 v[204:207], v112, s[2:3] offset:720
	ds_read_b128 v[0:3], v194 offset:4400
	ds_read_b128 v[4:7], v194 offset:8800
	s_clause 0x1
	global_load_dwordx4 v[208:211], v112, s[2:3] offset:736
	global_load_dwordx4 v[200:203], v112, s[2:3] offset:752
	s_waitcnt vmcnt(3) lgkmcnt(1)
	v_mul_f64 v[8:9], v[2:3], v[214:215]
	v_mul_f64 v[10:11], v[0:1], v[214:215]
	s_waitcnt vmcnt(2) lgkmcnt(0)
	v_mul_f64 v[12:13], v[6:7], v[206:207]
	v_fma_f64 v[18:19], v[0:1], v[212:213], -v[8:9]
	v_mul_f64 v[0:1], v[4:5], v[206:207]
	v_fma_f64 v[16:17], v[2:3], v[212:213], v[10:11]
	v_fma_f64 v[24:25], v[4:5], v[204:205], -v[12:13]
	v_fma_f64 v[20:21], v[6:7], v[204:205], v[0:1]
	ds_read_b128 v[0:3], v194 offset:13200
	v_mov_b32_e32 v6, 6
	s_waitcnt vmcnt(1) lgkmcnt(0)
	v_mul_f64 v[4:5], v[2:3], v[210:211]
	v_fma_f64 v[26:27], v[0:1], v[208:209], -v[4:5]
	v_mul_f64 v[0:1], v[0:1], v[210:211]
	v_add_f64 v[106:107], v[24:25], -v[26:27]
	v_fma_f64 v[22:23], v[2:3], v[208:209], v[0:1]
	ds_read_b128 v[0:3], v194 offset:17600
	s_waitcnt vmcnt(0) lgkmcnt(0)
	v_mul_f64 v[4:5], v[2:3], v[202:203]
	v_add_f64 v[74:75], v[20:21], -v[22:23]
	v_fma_f64 v[28:29], v[0:1], v[200:201], -v[4:5]
	v_mul_f64 v[0:1], v[0:1], v[202:203]
	v_add_f64 v[104:105], v[18:19], -v[28:29]
	v_fma_f64 v[30:31], v[2:3], v[200:201], v[0:1]
	ds_read_b128 v[0:3], v194 offset:5280
	s_waitcnt lgkmcnt(0)
	v_mul_f64 v[4:5], v[2:3], v[214:215]
	v_add_f64 v[72:73], v[16:17], -v[30:31]
	v_fma_f64 v[38:39], v[0:1], v[212:213], -v[4:5]
	v_mul_f64 v[0:1], v[0:1], v[214:215]
	v_fma_f64 v[36:37], v[2:3], v[212:213], v[0:1]
	ds_read_b128 v[0:3], v194 offset:9680
	s_waitcnt lgkmcnt(0)
	v_mul_f64 v[4:5], v[2:3], v[206:207]
	v_fma_f64 v[42:43], v[0:1], v[204:205], -v[4:5]
	v_mul_f64 v[0:1], v[0:1], v[206:207]
	v_add_f64 v[122:123], v[42:43], -v[38:39]
	v_fma_f64 v[44:45], v[2:3], v[204:205], v[0:1]
	ds_read_b128 v[0:3], v194 offset:14080
	s_waitcnt lgkmcnt(0)
	v_mul_f64 v[4:5], v[2:3], v[210:211]
	v_fma_f64 v[46:47], v[0:1], v[208:209], -v[4:5]
	v_mul_f64 v[0:1], v[0:1], v[210:211]
	v_add_f64 v[120:121], v[42:43], -v[46:47]
	;; [unrolled: 7-line block ×3, first 2 shown]
	v_fma_f64 v[50:51], v[2:3], v[200:201], v[0:1]
	v_mul_lo_u16 v0, 0x95, v93
	v_lshrrev_b16 v0, 13, v0
	v_mul_lo_u16 v0, v0, 55
	v_sub_nc_u16 v113, v158, v0
	ds_read_b128 v[0:3], v194 offset:6160
	v_lshlrev_b32_sdwa v7, v6, v113 dst_sel:DWORD dst_unused:UNUSED_PAD src0_sel:DWORD src1_sel:BYTE_0
	v_lshlrev_b32_sdwa v192, v178, v113 dst_sel:DWORD dst_unused:UNUSED_PAD src0_sel:DWORD src1_sel:BYTE_0
	global_load_dwordx4 v[8:11], v7, s[2:3] offset:704
	s_waitcnt vmcnt(0) lgkmcnt(0)
	v_mul_f64 v[4:5], v[2:3], v[10:11]
	v_fma_f64 v[58:59], v[0:1], v[8:9], -v[4:5]
	v_mul_f64 v[0:1], v[0:1], v[10:11]
	buffer_store_dword v8, off, s[40:43], 0 offset:904 ; 4-byte Folded Spill
	buffer_store_dword v9, off, s[40:43], 0 offset:908 ; 4-byte Folded Spill
	;; [unrolled: 1-line block ×4, first 2 shown]
	v_fma_f64 v[56:57], v[2:3], v[8:9], v[0:1]
	global_load_dwordx4 v[8:11], v7, s[2:3] offset:720
	ds_read_b128 v[0:3], v194 offset:10560
	s_waitcnt vmcnt(0) lgkmcnt(0)
	v_mul_f64 v[4:5], v[2:3], v[10:11]
	v_fma_f64 v[60:61], v[0:1], v[8:9], -v[4:5]
	v_mul_f64 v[0:1], v[0:1], v[10:11]
	buffer_store_dword v8, off, s[40:43], 0 offset:920 ; 4-byte Folded Spill
	buffer_store_dword v9, off, s[40:43], 0 offset:924 ; 4-byte Folded Spill
	;; [unrolled: 1-line block ×4, first 2 shown]
	v_add_f64 v[126:127], v[60:61], -v[58:59]
	v_fma_f64 v[62:63], v[2:3], v[8:9], v[0:1]
	global_load_dwordx4 v[8:11], v7, s[2:3] offset:736
	ds_read_b128 v[0:3], v194 offset:14960
	s_waitcnt vmcnt(0) lgkmcnt(0)
	v_mul_f64 v[4:5], v[2:3], v[10:11]
	v_fma_f64 v[66:67], v[0:1], v[8:9], -v[4:5]
	v_mul_f64 v[0:1], v[0:1], v[10:11]
	buffer_store_dword v8, off, s[40:43], 0 offset:936 ; 4-byte Folded Spill
	buffer_store_dword v9, off, s[40:43], 0 offset:940 ; 4-byte Folded Spill
	;; [unrolled: 1-line block ×4, first 2 shown]
	v_add_f64 v[124:125], v[60:61], -v[66:67]
	v_fma_f64 v[64:65], v[2:3], v[8:9], v[0:1]
	global_load_dwordx4 v[7:10], v7, s[2:3] offset:752
	ds_read_b128 v[0:3], v194 offset:19360
	s_waitcnt vmcnt(0) lgkmcnt(0)
	v_mul_f64 v[4:5], v[2:3], v[9:10]
	v_fma_f64 v[68:69], v[0:1], v[7:8], -v[4:5]
	v_mul_f64 v[0:1], v[0:1], v[9:10]
	buffer_store_dword v7, off, s[40:43], 0 offset:952 ; 4-byte Folded Spill
	buffer_store_dword v8, off, s[40:43], 0 offset:956 ; 4-byte Folded Spill
	;; [unrolled: 1-line block ×4, first 2 shown]
	v_fma_f64 v[70:71], v[2:3], v[7:8], v[0:1]
	v_mul_lo_u16 v0, 0x95, v92
	v_lshrrev_b16 v0, 13, v0
	v_mul_lo_u16 v0, v0, 55
	v_sub_nc_u16 v114, v111, v0
	ds_read_b128 v[0:3], v194 offset:7040
	v_lshlrev_b32_sdwa v6, v6, v114 dst_sel:DWORD dst_unused:UNUSED_PAD src0_sel:DWORD src1_sel:BYTE_0
	global_load_dwordx4 v[7:10], v6, s[2:3] offset:704
	s_waitcnt vmcnt(0) lgkmcnt(0)
	v_mul_f64 v[4:5], v[2:3], v[9:10]
	v_fma_f64 v[78:79], v[0:1], v[7:8], -v[4:5]
	v_mul_f64 v[0:1], v[0:1], v[9:10]
	buffer_store_dword v7, off, s[40:43], 0 offset:968 ; 4-byte Folded Spill
	buffer_store_dword v8, off, s[40:43], 0 offset:972 ; 4-byte Folded Spill
	;; [unrolled: 1-line block ×4, first 2 shown]
	v_fma_f64 v[76:77], v[2:3], v[7:8], v[0:1]
	global_load_dwordx4 v[7:10], v6, s[2:3] offset:720
	ds_read_b128 v[0:3], v194 offset:11440
	s_waitcnt vmcnt(0) lgkmcnt(0)
	v_mul_f64 v[4:5], v[2:3], v[9:10]
	v_fma_f64 v[80:81], v[0:1], v[7:8], -v[4:5]
	v_mul_f64 v[0:1], v[0:1], v[9:10]
	buffer_store_dword v7, off, s[40:43], 0 offset:984 ; 4-byte Folded Spill
	buffer_store_dword v8, off, s[40:43], 0 offset:988 ; 4-byte Folded Spill
	;; [unrolled: 1-line block ×4, first 2 shown]
	v_add_f64 v[130:131], v[80:81], -v[78:79]
	v_fma_f64 v[82:83], v[2:3], v[7:8], v[0:1]
	global_load_dwordx4 v[7:10], v6, s[2:3] offset:736
	ds_read_b128 v[0:3], v194 offset:15840
	s_waitcnt vmcnt(0) lgkmcnt(0)
	v_mul_f64 v[4:5], v[2:3], v[9:10]
	v_fma_f64 v[86:87], v[0:1], v[7:8], -v[4:5]
	v_mul_f64 v[0:1], v[0:1], v[9:10]
	buffer_store_dword v7, off, s[40:43], 0 offset:1000 ; 4-byte Folded Spill
	buffer_store_dword v8, off, s[40:43], 0 offset:1004 ; 4-byte Folded Spill
	;; [unrolled: 1-line block ×4, first 2 shown]
	v_add_f64 v[128:129], v[80:81], -v[86:87]
	v_fma_f64 v[84:85], v[2:3], v[7:8], v[0:1]
	global_load_dwordx4 v[6:9], v6, s[2:3] offset:752
	ds_read_b128 v[0:3], v194 offset:20240
	s_waitcnt vmcnt(0) lgkmcnt(0)
	v_mul_f64 v[4:5], v[2:3], v[8:9]
	v_fma_f64 v[108:109], v[0:1], v[6:7], -v[4:5]
	v_mul_f64 v[0:1], v[0:1], v[8:9]
	buffer_store_dword v6, off, s[40:43], 0 offset:1016 ; 4-byte Folded Spill
	buffer_store_dword v7, off, s[40:43], 0 offset:1020 ; 4-byte Folded Spill
	;; [unrolled: 1-line block ×4, first 2 shown]
	v_fma_f64 v[116:117], v[2:3], v[6:7], v[0:1]
	v_mov_b32_e32 v0, 0x29e5
	v_mul_u32_u24_sdwa v0, v110, v0 dst_sel:DWORD dst_unused:UNUSED_PAD src0_sel:WORD_0 src1_sel:DWORD
	v_lshrrev_b32_e32 v0, 16, v0
	v_sub_nc_u16 v1, v110, v0
	v_lshrrev_b16 v1, 1, v1
	v_add_nc_u16 v0, v1, v0
	v_lshrrev_b16 v0, 5, v0
	v_mul_lo_u16 v0, v0, 55
	v_sub_nc_u16 v115, v110, v0
	v_lshlrev_b16 v0, 6, v115
	v_and_b32_e32 v0, 0xffff, v0
	v_add_co_u32 v8, s0, s2, v0
	v_add_co_ci_u32_e64 v9, null, s3, 0, s0
	ds_read_b128 v[0:3], v194 offset:7920
	global_load_dwordx4 v[10:13], v[8:9], off offset:704
	s_waitcnt vmcnt(0) lgkmcnt(0)
	v_mul_f64 v[4:5], v[2:3], v[12:13]
	v_fma_f64 v[90:91], v[0:1], v[10:11], -v[4:5]
	v_mul_f64 v[0:1], v[0:1], v[12:13]
	buffer_store_dword v10, off, s[40:43], 0 offset:1032 ; 4-byte Folded Spill
	buffer_store_dword v11, off, s[40:43], 0 offset:1036 ; 4-byte Folded Spill
	;; [unrolled: 1-line block ×4, first 2 shown]
	global_load_dwordx4 v[252:255], v[8:9], off offset:720
	ds_read_b128 v[32:35], v194
	v_fma_f64 v[88:89], v[2:3], v[10:11], v[0:1]
	ds_read_b128 v[0:3], v194 offset:12320
	s_waitcnt vmcnt(0) lgkmcnt(0)
	v_mul_f64 v[4:5], v[2:3], v[254:255]
	v_fma_f64 v[96:97], v[0:1], v[252:253], -v[4:5]
	v_mul_f64 v[0:1], v[0:1], v[254:255]
	ds_read_b128 v[4:7], v194 offset:16720
	v_add_f64 v[134:135], v[96:97], -v[90:91]
	v_fma_f64 v[92:93], v[2:3], v[252:253], v[0:1]
	global_load_dwordx4 v[0:3], v[8:9], off offset:736
	s_waitcnt vmcnt(0) lgkmcnt(0)
	v_mul_f64 v[10:11], v[6:7], v[2:3]
	v_fma_f64 v[98:99], v[4:5], v[0:1], -v[10:11]
	v_mul_f64 v[4:5], v[4:5], v[2:3]
	v_add_f64 v[132:133], v[96:97], -v[98:99]
	v_fma_f64 v[94:95], v[6:7], v[0:1], v[4:5]
	global_load_dwordx4 v[4:7], v[8:9], off offset:752
	ds_read_b128 v[8:11], v194 offset:21120
	s_waitcnt vmcnt(0) lgkmcnt(0)
	v_mul_f64 v[12:13], v[10:11], v[6:7]
	v_fma_f64 v[102:103], v[8:9], v[4:5], -v[12:13]
	v_mul_f64 v[8:9], v[8:9], v[6:7]
	v_fma_f64 v[100:101], v[10:11], v[4:5], v[8:9]
	v_add_f64 v[8:9], v[18:19], -v[24:25]
	v_add_f64 v[10:11], v[28:29], -v[26:27]
	v_add_f64 v[12:13], v[8:9], v[10:11]
	v_add_f64 v[8:9], v[16:17], -v[20:21]
	v_add_f64 v[10:11], v[30:31], -v[22:23]
	v_add_f64 v[14:15], v[8:9], v[10:11]
	v_add_f64 v[8:9], v[24:25], v[26:27]
	v_fma_f64 v[52:53], v[8:9], -0.5, v[32:33]
	v_add_f64 v[8:9], v[20:21], v[22:23]
	v_fma_f64 v[54:55], v[8:9], -0.5, v[34:35]
	v_fma_f64 v[8:9], v[72:73], s[16:17], v[52:53]
	v_fma_f64 v[52:53], v[72:73], s[18:19], v[52:53]
	;; [unrolled: 1-line block ×10, first 2 shown]
	v_add_f64 v[52:53], v[18:19], v[28:29]
	v_fma_f64 v[10:11], v[14:15], s[20:21], v[10:11]
	v_fma_f64 v[14:15], v[14:15], s[20:21], v[54:55]
	v_add_f64 v[54:55], v[16:17], v[30:31]
	v_fma_f64 v[52:53], v[52:53], -0.5, v[32:33]
	v_add_f64 v[32:33], v[32:33], v[18:19]
	v_add_f64 v[18:19], v[24:25], -v[18:19]
	v_fma_f64 v[54:55], v[54:55], -0.5, v[34:35]
	v_add_f64 v[34:35], v[34:35], v[16:17]
	v_add_f64 v[16:17], v[20:21], -v[16:17]
	v_add_f64 v[24:25], v[32:33], v[24:25]
	v_add_f64 v[32:33], v[34:35], v[20:21]
	v_add_f64 v[34:35], v[26:27], -v[28:29]
	v_add_f64 v[20:21], v[24:25], v[26:27]
	v_add_f64 v[32:33], v[32:33], v[22:23]
	v_add_f64 v[34:35], v[18:19], v[34:35]
	v_add_f64 v[24:25], v[20:21], v[28:29]
	v_add_f64 v[20:21], v[22:23], -v[30:31]
	v_fma_f64 v[28:29], v[74:75], s[16:17], v[52:53]
	v_fma_f64 v[22:23], v[74:75], s[18:19], v[52:53]
	v_add_f64 v[26:27], v[32:33], v[30:31]
	v_fma_f64 v[30:31], v[106:107], s[16:17], v[54:55]
	v_fma_f64 v[32:33], v[106:107], s[18:19], v[54:55]
	v_add_f64 v[52:53], v[16:17], v[20:21]
	v_fma_f64 v[20:21], v[72:73], s[12:13], v[28:29]
	v_add_f64 v[28:29], v[38:39], -v[42:43]
	v_fma_f64 v[16:17], v[72:73], s[4:5], v[22:23]
	v_add_f64 v[106:107], v[44:45], -v[40:41]
	;; [unrolled: 2-line block ×3, first 2 shown]
	v_fma_f64 v[22:23], v[104:105], s[4:5], v[32:33]
	v_fma_f64 v[20:21], v[34:35], s[20:21], v[20:21]
	v_add_f64 v[104:105], v[36:37], -v[50:51]
	v_fma_f64 v[16:17], v[34:35], s[20:21], v[16:17]
	v_fma_f64 v[18:19], v[52:53], s[20:21], v[18:19]
	v_add_f64 v[32:33], v[28:29], v[30:31]
	v_add_f64 v[28:29], v[36:37], -v[44:45]
	v_add_f64 v[30:31], v[50:51], -v[40:41]
	v_fma_f64 v[22:23], v[52:53], s[20:21], v[22:23]
	ds_read_b128 v[52:55], v194 offset:880
	v_add_f64 v[34:35], v[28:29], v[30:31]
	v_add_f64 v[28:29], v[42:43], v[46:47]
	s_waitcnt lgkmcnt(0)
	v_fma_f64 v[72:73], v[28:29], -0.5, v[52:53]
	v_add_f64 v[28:29], v[44:45], v[40:41]
	v_fma_f64 v[74:75], v[28:29], -0.5, v[54:55]
	v_fma_f64 v[28:29], v[104:105], s[16:17], v[72:73]
	v_fma_f64 v[72:73], v[104:105], s[18:19], v[72:73]
	;; [unrolled: 1-line block ×10, first 2 shown]
	v_add_f64 v[72:73], v[38:39], v[48:49]
	v_fma_f64 v[30:31], v[34:35], s[20:21], v[30:31]
	v_fma_f64 v[34:35], v[34:35], s[20:21], v[74:75]
	v_add_f64 v[74:75], v[36:37], v[50:51]
	v_fma_f64 v[72:73], v[72:73], -0.5, v[52:53]
	v_add_f64 v[52:53], v[52:53], v[38:39]
	v_fma_f64 v[74:75], v[74:75], -0.5, v[54:55]
	v_add_f64 v[54:55], v[54:55], v[36:37]
	v_add_f64 v[38:39], v[52:53], v[42:43]
	v_fma_f64 v[52:53], v[120:121], s[18:19], v[74:75]
	v_add_f64 v[42:43], v[54:55], v[44:45]
	v_add_f64 v[44:45], v[44:45], -v[36:37]
	v_add_f64 v[36:37], v[38:39], v[46:47]
	v_add_f64 v[38:39], v[42:43], v[40:41]
	v_add_f64 v[42:43], v[46:47], -v[48:49]
	v_add_f64 v[36:37], v[36:37], v[48:49]
	v_add_f64 v[40:41], v[40:41], -v[50:51]
	v_fma_f64 v[48:49], v[106:107], s[16:17], v[72:73]
	v_fma_f64 v[46:47], v[106:107], s[18:19], v[72:73]
	v_add_f64 v[38:39], v[38:39], v[50:51]
	v_fma_f64 v[50:51], v[120:121], s[16:17], v[74:75]
	v_add_f64 v[54:55], v[122:123], v[42:43]
	v_add_f64 v[72:73], v[44:45], v[40:41]
	v_fma_f64 v[44:45], v[104:105], s[12:13], v[48:49]
	v_add_f64 v[48:49], v[58:59], -v[60:61]
	v_fma_f64 v[40:41], v[104:105], s[4:5], v[46:47]
	v_fma_f64 v[46:47], v[118:119], s[4:5], v[52:53]
	v_add_f64 v[122:123], v[58:59], -v[68:69]
	v_add_f64 v[120:121], v[62:63], -v[64:65]
	v_fma_f64 v[42:43], v[118:119], s[12:13], v[50:51]
	v_add_f64 v[50:51], v[68:69], -v[66:67]
	v_add_f64 v[118:119], v[56:57], -v[70:71]
	v_fma_f64 v[44:45], v[54:55], s[20:21], v[44:45]
	v_fma_f64 v[40:41], v[54:55], s[20:21], v[40:41]
	;; [unrolled: 1-line block ×4, first 2 shown]
	v_add_f64 v[52:53], v[48:49], v[50:51]
	v_add_f64 v[48:49], v[56:57], -v[62:63]
	v_add_f64 v[50:51], v[70:71], -v[64:65]
	ds_read_b128 v[72:75], v194 offset:1760
	v_add_f64 v[54:55], v[48:49], v[50:51]
	v_add_f64 v[48:49], v[60:61], v[66:67]
	s_waitcnt lgkmcnt(0)
	v_fma_f64 v[104:105], v[48:49], -0.5, v[72:73]
	v_add_f64 v[48:49], v[62:63], v[64:65]
	v_fma_f64 v[106:107], v[48:49], -0.5, v[74:75]
	v_fma_f64 v[48:49], v[118:119], s[16:17], v[104:105]
	v_fma_f64 v[104:105], v[118:119], s[18:19], v[104:105]
	;; [unrolled: 1-line block ×10, first 2 shown]
	v_add_f64 v[104:105], v[58:59], v[68:69]
	v_fma_f64 v[50:51], v[54:55], s[20:21], v[50:51]
	v_fma_f64 v[54:55], v[54:55], s[20:21], v[106:107]
	v_add_f64 v[106:107], v[56:57], v[70:71]
	v_fma_f64 v[104:105], v[104:105], -0.5, v[72:73]
	v_add_f64 v[72:73], v[72:73], v[58:59]
	v_fma_f64 v[106:107], v[106:107], -0.5, v[74:75]
	v_add_f64 v[74:75], v[74:75], v[56:57]
	v_add_f64 v[58:59], v[72:73], v[60:61]
	v_fma_f64 v[72:73], v[124:125], s[18:19], v[106:107]
	v_add_f64 v[60:61], v[74:75], v[62:63]
	v_add_f64 v[62:63], v[62:63], -v[56:57]
	v_add_f64 v[56:57], v[58:59], v[66:67]
	v_add_f64 v[58:59], v[60:61], v[64:65]
	v_add_f64 v[60:61], v[66:67], -v[68:69]
	v_add_f64 v[56:57], v[56:57], v[68:69]
	v_add_f64 v[64:65], v[64:65], -v[70:71]
	v_fma_f64 v[68:69], v[120:121], s[16:17], v[104:105]
	v_fma_f64 v[66:67], v[120:121], s[18:19], v[104:105]
	v_add_f64 v[58:59], v[58:59], v[70:71]
	v_fma_f64 v[70:71], v[124:125], s[16:17], v[106:107]
	v_add_f64 v[74:75], v[126:127], v[60:61]
	v_add_f64 v[104:105], v[62:63], v[64:65]
	v_fma_f64 v[64:65], v[118:119], s[12:13], v[68:69]
	v_add_f64 v[68:69], v[78:79], -v[80:81]
	v_fma_f64 v[60:61], v[118:119], s[4:5], v[66:67]
	v_fma_f64 v[66:67], v[122:123], s[4:5], v[72:73]
	v_add_f64 v[126:127], v[78:79], -v[108:109]
	v_add_f64 v[124:125], v[82:83], -v[84:85]
	v_fma_f64 v[62:63], v[122:123], s[12:13], v[70:71]
	v_add_f64 v[70:71], v[108:109], -v[86:87]
	v_add_f64 v[122:123], v[76:77], -v[116:117]
	v_fma_f64 v[64:65], v[74:75], s[20:21], v[64:65]
	v_fma_f64 v[60:61], v[74:75], s[20:21], v[60:61]
	;; [unrolled: 1-line block ×4, first 2 shown]
	v_add_f64 v[72:73], v[68:69], v[70:71]
	v_add_f64 v[68:69], v[76:77], -v[82:83]
	v_add_f64 v[70:71], v[116:117], -v[84:85]
	ds_read_b128 v[104:107], v194 offset:2640
	v_add_f64 v[74:75], v[68:69], v[70:71]
	v_add_f64 v[68:69], v[80:81], v[86:87]
	s_waitcnt lgkmcnt(0)
	v_fma_f64 v[118:119], v[68:69], -0.5, v[104:105]
	v_add_f64 v[68:69], v[82:83], v[84:85]
	v_fma_f64 v[120:121], v[68:69], -0.5, v[106:107]
	v_fma_f64 v[68:69], v[122:123], s[16:17], v[118:119]
	v_fma_f64 v[118:119], v[122:123], s[18:19], v[118:119]
	;; [unrolled: 1-line block ×10, first 2 shown]
	v_add_f64 v[118:119], v[78:79], v[108:109]
	v_fma_f64 v[70:71], v[74:75], s[20:21], v[70:71]
	v_fma_f64 v[74:75], v[74:75], s[20:21], v[120:121]
	v_add_f64 v[120:121], v[76:77], v[116:117]
	v_fma_f64 v[118:119], v[118:119], -0.5, v[104:105]
	v_add_f64 v[104:105], v[104:105], v[78:79]
	v_fma_f64 v[120:121], v[120:121], -0.5, v[106:107]
	v_add_f64 v[106:107], v[106:107], v[76:77]
	v_add_f64 v[78:79], v[104:105], v[80:81]
	v_fma_f64 v[104:105], v[124:125], s[16:17], v[118:119]
	v_add_f64 v[80:81], v[106:107], v[82:83]
	v_add_f64 v[82:83], v[82:83], -v[76:77]
	v_add_f64 v[76:77], v[78:79], v[86:87]
	v_fma_f64 v[106:107], v[128:129], s[16:17], v[120:121]
	v_add_f64 v[78:79], v[80:81], v[84:85]
	v_add_f64 v[84:85], v[84:85], -v[116:117]
	v_add_f64 v[80:81], v[86:87], -v[108:109]
	v_add_f64 v[76:77], v[76:77], v[108:109]
	v_fma_f64 v[86:87], v[124:125], s[18:19], v[118:119]
	v_fma_f64 v[108:109], v[128:129], s[18:19], v[120:121]
	v_add_f64 v[120:121], v[92:93], v[94:95]
	v_add_f64 v[128:129], v[92:93], -v[94:95]
	v_add_f64 v[78:79], v[78:79], v[116:117]
	v_add_f64 v[118:119], v[82:83], v[84:85]
	v_fma_f64 v[84:85], v[122:123], s[12:13], v[104:105]
	v_fma_f64 v[82:83], v[126:127], s[12:13], v[106:107]
	v_add_f64 v[104:105], v[90:91], -v[96:97]
	v_add_f64 v[106:107], v[102:103], -v[98:99]
	v_add_f64 v[116:117], v[130:131], v[80:81]
	v_fma_f64 v[80:81], v[122:123], s[4:5], v[86:87]
	v_fma_f64 v[86:87], v[126:127], s[4:5], v[108:109]
	v_add_f64 v[108:109], v[100:101], -v[94:95]
	v_add_f64 v[126:127], v[88:89], -v[100:101]
	;; [unrolled: 1-line block ×3, first 2 shown]
	v_fma_f64 v[82:83], v[118:119], s[20:21], v[82:83]
	v_add_f64 v[104:105], v[104:105], v[106:107]
	v_add_f64 v[106:107], v[88:89], -v[92:93]
	v_fma_f64 v[80:81], v[116:117], s[20:21], v[80:81]
	v_fma_f64 v[84:85], v[116:117], s[20:21], v[84:85]
	;; [unrolled: 1-line block ×3, first 2 shown]
	ds_read_b128 v[116:119], v194 offset:3520
	s_waitcnt lgkmcnt(0)
	s_waitcnt_vscnt null, 0x0
	s_barrier
	buffer_gl0_inv
	ds_write_b128 v194, v[24:27]
	ds_write_b128 v194, v[36:39] offset:4400
	ds_write_b128 v194, v[8:11] offset:880
	;; [unrolled: 1-line block ×9, first 2 shown]
	v_lshlrev_b32_sdwa v8, v178, v114 dst_sel:DWORD dst_unused:UNUSED_PAD src0_sel:DWORD src1_sel:BYTE_0
	ds_write_b128 v192, v[56:59] offset:8800
	ds_write_b128 v192, v[48:51] offset:9680
	;; [unrolled: 1-line block ×9, first 2 shown]
	v_add_f64 v[106:107], v[106:107], v[108:109]
	v_add_f64 v[108:109], v[96:97], v[98:99]
	v_fma_f64 v[124:125], v[120:121], -0.5, v[118:119]
	buffer_store_dword v8, off, s[40:43], 0 offset:1052 ; 4-byte Folded Spill
	ds_write_b128 v8, v[72:75] offset:16720
	v_lshlrev_b32_sdwa v8, v178, v115 dst_sel:DWORD dst_unused:UNUSED_PAD src0_sel:DWORD src1_sel:WORD_0
	v_add_co_u32 v18, s0, s2, v112
	v_add_co_ci_u32_e64 v19, null, s3, 0, s0
	v_fma_f64 v[108:109], v[108:109], -0.5, v[116:117]
	v_fma_f64 v[122:123], v[130:131], s[18:19], v[124:125]
	v_fma_f64 v[124:125], v[130:131], s[16:17], v[124:125]
	;; [unrolled: 1-line block ×10, first 2 shown]
	v_add_f64 v[124:125], v[88:89], v[100:101]
	v_fma_f64 v[120:121], v[104:105], s[20:21], v[120:121]
	v_fma_f64 v[104:105], v[104:105], s[20:21], v[108:109]
	v_add_f64 v[108:109], v[90:91], v[102:103]
	v_fma_f64 v[124:125], v[124:125], -0.5, v[118:119]
	v_add_f64 v[118:119], v[118:119], v[88:89]
	v_fma_f64 v[108:109], v[108:109], -0.5, v[116:117]
	v_add_f64 v[116:117], v[116:117], v[90:91]
	v_add_f64 v[90:91], v[116:117], v[96:97]
	;; [unrolled: 1-line block ×3, first 2 shown]
	v_add_f64 v[92:93], v[92:93], -v[88:89]
	v_add_f64 v[88:89], v[90:91], v[98:99]
	v_add_f64 v[90:91], v[96:97], v[94:95]
	v_add_f64 v[96:97], v[98:99], -v[102:103]
	v_add_f64 v[94:95], v[94:95], -v[100:101]
	v_fma_f64 v[98:99], v[128:129], s[18:19], v[108:109]
	v_add_f64 v[88:89], v[88:89], v[102:103]
	v_fma_f64 v[102:103], v[132:133], s[16:17], v[124:125]
	v_add_f64 v[90:91], v[90:91], v[100:101]
	v_fma_f64 v[100:101], v[128:129], s[16:17], v[108:109]
	v_fma_f64 v[108:109], v[132:133], s[18:19], v[124:125]
	v_add_f64 v[96:97], v[134:135], v[96:97]
	v_add_f64 v[116:117], v[92:93], v[94:95]
	v_fma_f64 v[92:93], v[126:127], s[4:5], v[98:99]
	v_fma_f64 v[94:95], v[130:131], s[12:13], v[102:103]
	;; [unrolled: 1-line block ×8, first 2 shown]
	ds_write_b128 v8, v[88:91] offset:17600
	ds_write_b128 v8, v[120:123] offset:18480
	ds_write_b128 v8, v[92:95] offset:19360
	ds_write_b128 v8, v[96:99] offset:20240
	buffer_store_dword v8, off, s[40:43], 0 offset:1048 ; 4-byte Folded Spill
	ds_write_b128 v8, v[104:107] offset:21120
	v_add_co_u32 v8, s0, 0x1000, v18
	v_add_co_ci_u32_e64 v9, s0, 0, v19, s0
	s_waitcnt lgkmcnt(0)
	s_waitcnt_vscnt null, 0x0
	s_barrier
	buffer_gl0_inv
	global_load_dwordx4 v[8:11], v[8:9], off offset:128
	v_add_co_u32 v24, s0, 0x1080, v18
	v_add_co_ci_u32_e64 v25, s0, 0, v19, s0
	ds_read_b128 v[12:15], v194 offset:4400
	global_load_dwordx4 v[20:23], v[24:25], off offset:16
	s_waitcnt vmcnt(1) lgkmcnt(0)
	v_mul_f64 v[16:17], v[14:15], v[10:11]
	v_fma_f64 v[108:109], v[12:13], v[8:9], -v[16:17]
	v_mul_f64 v[12:13], v[12:13], v[10:11]
	v_fma_f64 v[112:113], v[14:15], v[8:9], v[12:13]
	ds_read_b128 v[12:15], v194 offset:8800
	s_waitcnt vmcnt(0) lgkmcnt(0)
	v_mul_f64 v[16:17], v[14:15], v[22:23]
	v_fma_f64 v[114:115], v[12:13], v[20:21], -v[16:17]
	global_load_dwordx4 v[16:19], v[24:25], off offset:32
	v_mul_f64 v[12:13], v[12:13], v[22:23]
	v_fma_f64 v[116:117], v[14:15], v[20:21], v[12:13]
	ds_read_b128 v[12:15], v194 offset:13200
	s_waitcnt vmcnt(0) lgkmcnt(0)
	v_mul_f64 v[26:27], v[14:15], v[18:19]
	v_fma_f64 v[118:119], v[12:13], v[16:17], -v[26:27]
	v_mul_f64 v[12:13], v[12:13], v[18:19]
	v_add_f64 v[174:175], v[114:115], -v[118:119]
	v_fma_f64 v[120:121], v[14:15], v[16:17], v[12:13]
	global_load_dwordx4 v[12:15], v[24:25], off offset:48
	ds_read_b128 v[24:27], v194 offset:17600
	v_add_f64 v[162:163], v[116:117], -v[120:121]
	s_waitcnt vmcnt(0) lgkmcnt(0)
	v_mul_f64 v[28:29], v[26:27], v[14:15]
	v_fma_f64 v[122:123], v[24:25], v[12:13], -v[28:29]
	v_mul_f64 v[24:25], v[24:25], v[14:15]
	v_add_f64 v[172:173], v[108:109], -v[122:123]
	v_fma_f64 v[124:125], v[26:27], v[12:13], v[24:25]
	v_lshlrev_b32_e32 v24, 6, v159
	v_add_co_u32 v30, s0, s2, v24
	v_add_co_ci_u32_e64 v31, null, s3, 0, s0
	v_add_co_u32 v24, s0, 0x1000, v30
	v_add_co_ci_u32_e64 v25, s0, 0, v31, s0
	global_load_dwordx4 v[40:43], v[24:25], off offset:128
	ds_read_b128 v[24:27], v194 offset:5280
	v_add_f64 v[160:161], v[112:113], -v[124:125]
	s_waitcnt vmcnt(0) lgkmcnt(0)
	v_mul_f64 v[28:29], v[26:27], v[42:43]
	v_fma_f64 v[126:127], v[24:25], v[40:41], -v[28:29]
	v_add_co_u32 v28, s0, 0x1080, v30
	v_add_co_ci_u32_e64 v29, s0, 0, v31, s0
	v_mul_f64 v[24:25], v[24:25], v[42:43]
	s_clause 0x2
	global_load_dwordx4 v[56:59], v[28:29], off offset:16
	global_load_dwordx4 v[60:63], v[28:29], off offset:32
	;; [unrolled: 1-line block ×3, first 2 shown]
	v_fma_f64 v[128:129], v[26:27], v[40:41], v[24:25]
	ds_read_b128 v[24:27], v194 offset:9680
	s_waitcnt vmcnt(2) lgkmcnt(0)
	v_mul_f64 v[30:31], v[26:27], v[58:59]
	v_fma_f64 v[130:131], v[24:25], v[56:57], -v[30:31]
	v_mul_f64 v[24:25], v[24:25], v[58:59]
	v_fma_f64 v[132:133], v[26:27], v[56:57], v[24:25]
	ds_read_b128 v[24:27], v194 offset:14080
	s_waitcnt vmcnt(1) lgkmcnt(0)
	v_mul_f64 v[30:31], v[26:27], v[62:63]
	v_fma_f64 v[134:135], v[24:25], v[60:61], -v[30:31]
	v_mul_f64 v[24:25], v[24:25], v[62:63]
	v_add_f64 v[216:217], v[130:131], -v[134:135]
	v_fma_f64 v[136:137], v[26:27], v[60:61], v[24:25]
	ds_read_b128 v[24:27], v194 offset:18480
	s_waitcnt vmcnt(0) lgkmcnt(0)
	v_mul_f64 v[28:29], v[26:27], v[66:67]
	v_fma_f64 v[138:139], v[24:25], v[64:65], -v[28:29]
	v_mul_f64 v[24:25], v[24:25], v[66:67]
	v_fma_f64 v[144:145], v[26:27], v[64:65], v[24:25]
	v_lshlrev_b32_e32 v24, 6, v158
	v_add_co_u32 v30, s0, s2, v24
	v_add_co_ci_u32_e64 v31, null, s3, 0, s0
	v_add_co_u32 v24, s0, 0x1000, v30
	v_add_co_ci_u32_e64 v25, s0, 0, v31, s0
	global_load_dwordx4 v[84:87], v[24:25], off offset:128
	ds_read_b128 v[24:27], v194 offset:6160
	s_waitcnt vmcnt(0) lgkmcnt(0)
	v_mul_f64 v[28:29], v[26:27], v[86:87]
	v_fma_f64 v[146:147], v[24:25], v[84:85], -v[28:29]
	v_add_co_u32 v28, s0, 0x1080, v30
	v_add_co_ci_u32_e64 v29, s0, 0, v31, s0
	v_mul_f64 v[24:25], v[24:25], v[86:87]
	s_clause 0x2
	global_load_dwordx4 v[76:79], v[28:29], off offset:16
	global_load_dwordx4 v[80:83], v[28:29], off offset:32
	;; [unrolled: 1-line block ×3, first 2 shown]
	v_fma_f64 v[148:149], v[26:27], v[84:85], v[24:25]
	ds_read_b128 v[24:27], v194 offset:10560
	s_waitcnt vmcnt(2) lgkmcnt(0)
	v_mul_f64 v[30:31], v[26:27], v[78:79]
	v_fma_f64 v[150:151], v[24:25], v[76:77], -v[30:31]
	v_mul_f64 v[24:25], v[24:25], v[78:79]
	v_fma_f64 v[152:153], v[26:27], v[76:77], v[24:25]
	ds_read_b128 v[24:27], v194 offset:14960
	s_waitcnt vmcnt(1) lgkmcnt(0)
	v_mul_f64 v[30:31], v[26:27], v[82:83]
	v_fma_f64 v[154:155], v[24:25], v[80:81], -v[30:31]
	v_mul_f64 v[24:25], v[24:25], v[82:83]
	v_add_f64 v[220:221], v[150:151], -v[154:155]
	v_fma_f64 v[156:157], v[26:27], v[80:81], v[24:25]
	ds_read_b128 v[24:27], v194 offset:19360
	s_waitcnt vmcnt(0) lgkmcnt(0)
	v_mul_f64 v[28:29], v[26:27], v[70:71]
	v_fma_f64 v[158:159], v[24:25], v[68:69], -v[28:29]
	v_mul_f64 v[24:25], v[24:25], v[70:71]
	v_fma_f64 v[164:165], v[26:27], v[68:69], v[24:25]
	v_lshlrev_b32_e32 v24, 6, v111
	v_add_co_u32 v30, s0, s2, v24
	v_add_co_ci_u32_e64 v31, null, s3, 0, s0
	v_add_co_u32 v24, s0, 0x1000, v30
	v_add_co_ci_u32_e64 v25, s0, 0, v31, s0
	global_load_dwordx4 v[72:75], v[24:25], off offset:128
	ds_read_b128 v[24:27], v194 offset:7040
	s_waitcnt vmcnt(0) lgkmcnt(0)
	v_mul_f64 v[28:29], v[26:27], v[74:75]
	v_fma_f64 v[166:167], v[24:25], v[72:73], -v[28:29]
	v_add_co_u32 v28, s0, 0x1080, v30
	v_add_co_ci_u32_e64 v29, s0, 0, v31, s0
	v_mul_f64 v[24:25], v[24:25], v[74:75]
	s_clause 0x2
	global_load_dwordx4 v[52:55], v[28:29], off offset:16
	global_load_dwordx4 v[44:47], v[28:29], off offset:32
	;; [unrolled: 1-line block ×3, first 2 shown]
	v_fma_f64 v[168:169], v[26:27], v[72:73], v[24:25]
	ds_read_b128 v[24:27], v194 offset:11440
	s_waitcnt vmcnt(2) lgkmcnt(0)
	v_mul_f64 v[30:31], v[26:27], v[54:55]
	v_fma_f64 v[170:171], v[24:25], v[52:53], -v[30:31]
	v_mul_f64 v[24:25], v[24:25], v[54:55]
	v_fma_f64 v[176:177], v[26:27], v[52:53], v[24:25]
	ds_read_b128 v[24:27], v194 offset:15840
	s_waitcnt vmcnt(1) lgkmcnt(0)
	v_mul_f64 v[30:31], v[26:27], v[46:47]
	v_fma_f64 v[178:179], v[24:25], v[44:45], -v[30:31]
	v_mul_f64 v[24:25], v[24:25], v[46:47]
	;; [unrolled: 6-line block ×3, first 2 shown]
	v_fma_f64 v[196:197], v[26:27], v[48:49], v[24:25]
	v_lshlrev_b32_e32 v24, 6, v110
	v_add_co_u32 v30, s0, s2, v24
	v_add_co_ci_u32_e64 v31, null, s3, 0, s0
	s_add_u32 s2, s6, 0x55f0
	v_add_co_u32 v24, s0, 0x1000, v30
	v_add_co_ci_u32_e64 v25, s0, 0, v31, s0
	v_add_co_u32 v88, s0, 0x1080, v30
	v_add_co_ci_u32_e64 v89, s0, 0, v31, s0
	global_load_dwordx4 v[32:35], v[24:25], off offset:128
	s_addc_u32 s3, s7, 0
	global_load_dwordx4 v[36:39], v[88:89], off offset:16
	ds_read_b128 v[24:27], v194 offset:7920
	s_waitcnt vmcnt(1) lgkmcnt(0)
	v_mul_f64 v[28:29], v[26:27], v[34:35]
	v_fma_f64 v[182:183], v[24:25], v[32:33], -v[28:29]
	v_mul_f64 v[24:25], v[24:25], v[34:35]
	v_fma_f64 v[92:93], v[26:27], v[32:33], v[24:25]
	ds_read_b128 v[24:27], v194 offset:12320
	s_waitcnt vmcnt(0) lgkmcnt(0)
	v_mul_f64 v[28:29], v[26:27], v[38:39]
	v_fma_f64 v[186:187], v[24:25], v[36:37], -v[28:29]
	global_load_dwordx4 v[28:31], v[88:89], off offset:32
	v_mul_f64 v[24:25], v[24:25], v[38:39]
	v_add_f64 v[228:229], v[186:187], -v[182:183]
	v_fma_f64 v[96:97], v[26:27], v[36:37], v[24:25]
	ds_read_b128 v[24:27], v194 offset:16720
	s_waitcnt vmcnt(0) lgkmcnt(0)
	v_mul_f64 v[90:91], v[26:27], v[30:31]
	v_fma_f64 v[98:99], v[24:25], v[28:29], -v[90:91]
	v_mul_f64 v[24:25], v[24:25], v[30:31]
	v_add_f64 v[226:227], v[186:187], -v[98:99]
	v_fma_f64 v[94:95], v[26:27], v[28:29], v[24:25]
	global_load_dwordx4 v[24:27], v[88:89], off offset:48
	ds_read_b128 v[88:91], v194 offset:21120
	s_waitcnt vmcnt(0) lgkmcnt(0)
	v_mul_f64 v[100:101], v[90:91], v[26:27]
	v_fma_f64 v[184:185], v[88:89], v[24:25], -v[100:101]
	v_mul_f64 v[88:89], v[88:89], v[26:27]
	v_add_f64 v[100:101], v[114:115], v[118:119]
	v_add_f64 v[224:225], v[182:183], -v[184:185]
	v_fma_f64 v[180:181], v[90:91], v[24:25], v[88:89]
	v_add_f64 v[88:89], v[108:109], -v[114:115]
	v_add_f64 v[90:91], v[122:123], -v[118:119]
	v_add_f64 v[104:105], v[88:89], v[90:91]
	v_add_f64 v[88:89], v[112:113], -v[116:117]
	v_add_f64 v[90:91], v[124:125], -v[120:121]
	v_add_f64 v[106:107], v[88:89], v[90:91]
	ds_read_b128 v[88:91], v194
	s_waitcnt lgkmcnt(0)
	v_fma_f64 v[110:111], v[100:101], -0.5, v[88:89]
	v_add_f64 v[100:101], v[116:117], v[120:121]
	v_fma_f64 v[140:141], v[100:101], -0.5, v[90:91]
	v_fma_f64 v[100:101], v[160:161], s[16:17], v[110:111]
	v_fma_f64 v[110:111], v[160:161], s[18:19], v[110:111]
	;; [unrolled: 1-line block ×10, first 2 shown]
	v_add_f64 v[110:111], v[108:109], v[122:123]
	v_fma_f64 v[102:103], v[106:107], s[20:21], v[102:103]
	v_fma_f64 v[106:107], v[106:107], s[20:21], v[140:141]
	v_add_f64 v[140:141], v[112:113], v[124:125]
	v_fma_f64 v[110:111], v[110:111], -0.5, v[88:89]
	v_add_f64 v[88:89], v[88:89], v[108:109]
	v_add_f64 v[108:109], v[114:115], -v[108:109]
	v_fma_f64 v[198:199], v[140:141], -0.5, v[90:91]
	v_add_f64 v[90:91], v[90:91], v[112:113]
	v_add_f64 v[112:113], v[116:117], -v[112:113]
	v_add_f64 v[88:89], v[88:89], v[114:115]
	v_add_f64 v[114:115], v[118:119], -v[122:123]
	v_add_f64 v[90:91], v[90:91], v[116:117]
	v_fma_f64 v[116:117], v[174:175], s[16:17], v[198:199]
	v_add_f64 v[88:89], v[88:89], v[118:119]
	v_fma_f64 v[118:119], v[174:175], s[18:19], v[198:199]
	v_add_f64 v[114:115], v[108:109], v[114:115]
	v_add_f64 v[198:199], v[126:127], -v[138:139]
	v_add_f64 v[174:175], v[132:133], -v[136:137]
	v_add_f64 v[90:91], v[90:91], v[120:121]
	v_add_f64 v[140:141], v[88:89], v[122:123]
	v_add_f64 v[88:89], v[120:121], -v[124:125]
	v_add_f64 v[142:143], v[90:91], v[124:125]
	v_fma_f64 v[90:91], v[162:163], s[18:19], v[110:111]
	v_fma_f64 v[110:111], v[162:163], s[16:17], v[110:111]
	v_add_f64 v[88:89], v[112:113], v[88:89]
	v_fma_f64 v[90:91], v[160:161], s[4:5], v[90:91]
	v_fma_f64 v[112:113], v[160:161], s[12:13], v[110:111]
	;; [unrolled: 1-line block ×4, first 2 shown]
	v_add_f64 v[172:173], v[128:129], -v[144:145]
	v_fma_f64 v[108:109], v[114:115], s[20:21], v[90:91]
	v_fma_f64 v[112:113], v[114:115], s[20:21], v[112:113]
	;; [unrolled: 1-line block ×4, first 2 shown]
	v_add_f64 v[88:89], v[126:127], -v[130:131]
	v_add_f64 v[90:91], v[138:139], -v[134:135]
	v_add_f64 v[116:117], v[130:131], v[134:135]
	v_add_f64 v[120:121], v[88:89], v[90:91]
	v_add_f64 v[88:89], v[128:129], -v[132:133]
	v_add_f64 v[90:91], v[144:145], -v[136:137]
	v_add_f64 v[122:123], v[88:89], v[90:91]
	ds_read_b128 v[88:91], v194 offset:880
	s_waitcnt lgkmcnt(0)
	v_fma_f64 v[124:125], v[116:117], -0.5, v[88:89]
	v_add_f64 v[116:117], v[132:133], v[136:137]
	v_fma_f64 v[160:161], v[116:117], -0.5, v[90:91]
	v_fma_f64 v[116:117], v[172:173], s[16:17], v[124:125]
	v_fma_f64 v[124:125], v[172:173], s[18:19], v[124:125]
	;; [unrolled: 1-line block ×10, first 2 shown]
	v_add_f64 v[124:125], v[126:127], v[138:139]
	v_fma_f64 v[118:119], v[122:123], s[20:21], v[118:119]
	v_fma_f64 v[122:123], v[122:123], s[20:21], v[160:161]
	v_add_f64 v[160:161], v[128:129], v[144:145]
	v_fma_f64 v[124:125], v[124:125], -0.5, v[88:89]
	v_add_f64 v[88:89], v[88:89], v[126:127]
	v_add_f64 v[126:127], v[130:131], -v[126:127]
	v_fma_f64 v[218:219], v[160:161], -0.5, v[90:91]
	v_add_f64 v[90:91], v[90:91], v[128:129]
	v_add_f64 v[128:129], v[132:133], -v[128:129]
	v_add_f64 v[88:89], v[88:89], v[130:131]
	v_add_f64 v[130:131], v[134:135], -v[138:139]
	v_add_f64 v[90:91], v[90:91], v[132:133]
	v_fma_f64 v[132:133], v[216:217], s[16:17], v[218:219]
	v_add_f64 v[88:89], v[88:89], v[134:135]
	v_fma_f64 v[134:135], v[216:217], s[18:19], v[218:219]
	v_add_f64 v[130:131], v[126:127], v[130:131]
	v_add_f64 v[218:219], v[146:147], -v[158:159]
	v_add_f64 v[216:217], v[152:153], -v[156:157]
	v_add_f64 v[90:91], v[90:91], v[136:137]
	v_fma_f64 v[126:127], v[198:199], s[12:13], v[132:133]
	v_add_f64 v[160:161], v[88:89], v[138:139]
	v_add_f64 v[88:89], v[136:137], -v[144:145]
	v_fma_f64 v[132:133], v[198:199], s[4:5], v[134:135]
	v_add_f64 v[198:199], v[148:149], -v[164:165]
	v_add_f64 v[162:163], v[90:91], v[144:145]
	v_fma_f64 v[90:91], v[174:175], s[18:19], v[124:125]
	v_fma_f64 v[124:125], v[174:175], s[16:17], v[124:125]
	v_add_f64 v[88:89], v[128:129], v[88:89]
	v_fma_f64 v[90:91], v[172:173], s[4:5], v[90:91]
	v_fma_f64 v[128:129], v[172:173], s[12:13], v[124:125]
	;; [unrolled: 1-line block ×6, first 2 shown]
	v_add_f64 v[88:89], v[146:147], -v[150:151]
	v_add_f64 v[90:91], v[158:159], -v[154:155]
	v_add_f64 v[132:133], v[150:151], v[154:155]
	v_add_f64 v[136:137], v[88:89], v[90:91]
	v_add_f64 v[88:89], v[148:149], -v[152:153]
	v_add_f64 v[90:91], v[164:165], -v[156:157]
	v_add_f64 v[138:139], v[88:89], v[90:91]
	ds_read_b128 v[88:91], v194 offset:1760
	s_waitcnt lgkmcnt(0)
	v_fma_f64 v[144:145], v[132:133], -0.5, v[88:89]
	v_add_f64 v[132:133], v[152:153], v[156:157]
	v_fma_f64 v[172:173], v[132:133], -0.5, v[90:91]
	v_fma_f64 v[132:133], v[198:199], s[16:17], v[144:145]
	v_fma_f64 v[144:145], v[198:199], s[18:19], v[144:145]
	;; [unrolled: 1-line block ×10, first 2 shown]
	v_add_f64 v[144:145], v[146:147], v[158:159]
	v_fma_f64 v[134:135], v[138:139], s[20:21], v[134:135]
	v_fma_f64 v[138:139], v[138:139], s[20:21], v[172:173]
	v_add_f64 v[172:173], v[148:149], v[164:165]
	v_fma_f64 v[144:145], v[144:145], -0.5, v[88:89]
	v_add_f64 v[88:89], v[88:89], v[146:147]
	v_add_f64 v[146:147], v[150:151], -v[146:147]
	v_fma_f64 v[222:223], v[172:173], -0.5, v[90:91]
	v_add_f64 v[90:91], v[90:91], v[148:149]
	v_add_f64 v[148:149], v[152:153], -v[148:149]
	v_add_f64 v[88:89], v[88:89], v[150:151]
	v_add_f64 v[150:151], v[154:155], -v[158:159]
	v_add_f64 v[90:91], v[90:91], v[152:153]
	v_fma_f64 v[152:153], v[220:221], s[16:17], v[222:223]
	v_add_f64 v[88:89], v[88:89], v[154:155]
	v_fma_f64 v[154:155], v[220:221], s[18:19], v[222:223]
	v_add_f64 v[150:151], v[146:147], v[150:151]
	v_add_f64 v[220:221], v[166:167], -v[190:191]
	v_add_f64 v[222:223], v[170:171], -v[178:179]
	v_add_f64 v[90:91], v[90:91], v[156:157]
	v_fma_f64 v[146:147], v[218:219], s[12:13], v[152:153]
	v_add_f64 v[172:173], v[88:89], v[158:159]
	v_add_f64 v[88:89], v[156:157], -v[164:165]
	v_fma_f64 v[152:153], v[218:219], s[4:5], v[154:155]
	v_add_f64 v[218:219], v[176:177], -v[188:189]
	v_add_f64 v[174:175], v[90:91], v[164:165]
	v_fma_f64 v[90:91], v[216:217], s[18:19], v[144:145]
	v_fma_f64 v[144:145], v[216:217], s[16:17], v[144:145]
	v_add_f64 v[88:89], v[148:149], v[88:89]
	v_add_f64 v[216:217], v[168:169], -v[196:197]
	v_fma_f64 v[90:91], v[198:199], s[4:5], v[90:91]
	v_fma_f64 v[148:149], v[198:199], s[12:13], v[144:145]
	;; [unrolled: 1-line block ×6, first 2 shown]
	v_add_f64 v[88:89], v[166:167], -v[170:171]
	v_add_f64 v[90:91], v[190:191], -v[178:179]
	v_add_f64 v[152:153], v[170:171], v[178:179]
	v_add_f64 v[156:157], v[88:89], v[90:91]
	v_add_f64 v[88:89], v[168:169], -v[176:177]
	v_add_f64 v[90:91], v[196:197], -v[188:189]
	v_add_f64 v[158:159], v[88:89], v[90:91]
	ds_read_b128 v[88:91], v194 offset:2640
	s_waitcnt lgkmcnt(0)
	v_fma_f64 v[164:165], v[152:153], -0.5, v[88:89]
	v_add_f64 v[152:153], v[176:177], v[188:189]
	v_fma_f64 v[198:199], v[152:153], -0.5, v[90:91]
	v_fma_f64 v[152:153], v[216:217], s[16:17], v[164:165]
	v_fma_f64 v[164:165], v[216:217], s[18:19], v[164:165]
	;; [unrolled: 1-line block ×10, first 2 shown]
	v_add_f64 v[164:165], v[166:167], v[190:191]
	v_fma_f64 v[154:155], v[158:159], s[20:21], v[154:155]
	v_fma_f64 v[158:159], v[158:159], s[20:21], v[198:199]
	v_add_f64 v[198:199], v[168:169], v[196:197]
	v_fma_f64 v[164:165], v[164:165], -0.5, v[88:89]
	v_add_f64 v[88:89], v[88:89], v[166:167]
	v_add_f64 v[166:167], v[170:171], -v[166:167]
	v_fma_f64 v[198:199], v[198:199], -0.5, v[90:91]
	v_add_f64 v[90:91], v[90:91], v[168:169]
	v_add_f64 v[168:169], v[176:177], -v[168:169]
	v_add_f64 v[88:89], v[88:89], v[170:171]
	v_add_f64 v[170:171], v[178:179], -v[190:191]
	v_add_f64 v[90:91], v[90:91], v[176:177]
	v_add_f64 v[88:89], v[88:89], v[178:179]
	;; [unrolled: 1-line block ×5, first 2 shown]
	v_add_f64 v[88:89], v[188:189], -v[196:197]
	v_fma_f64 v[188:189], v[222:223], s[16:17], v[198:199]
	v_fma_f64 v[190:191], v[222:223], s[18:19], v[198:199]
	v_add_f64 v[222:223], v[96:97], -v[94:95]
	v_add_f64 v[178:179], v[90:91], v[196:197]
	v_fma_f64 v[90:91], v[218:219], s[18:19], v[164:165]
	v_fma_f64 v[164:165], v[218:219], s[16:17], v[164:165]
	v_add_f64 v[88:89], v[168:169], v[88:89]
	v_fma_f64 v[166:167], v[220:221], s[12:13], v[188:189]
	v_fma_f64 v[188:189], v[220:221], s[4:5], v[190:191]
	v_add_f64 v[190:191], v[186:187], v[98:99]
	ds_read_b128 v[196:199], v194 offset:3520
	v_add_f64 v[220:221], v[92:93], -v[180:181]
	v_fma_f64 v[90:91], v[216:217], s[4:5], v[90:91]
	v_fma_f64 v[168:169], v[216:217], s[12:13], v[164:165]
	;; [unrolled: 1-line block ×6, first 2 shown]
	v_add_f64 v[88:89], v[182:183], -v[186:187]
	v_add_f64 v[90:91], v[184:185], -v[98:99]
	;; [unrolled: 1-line block ×3, first 2 shown]
	v_add_f64 v[88:89], v[88:89], v[90:91]
	v_add_f64 v[90:91], v[92:93], -v[96:97]
	v_add_f64 v[90:91], v[90:91], v[188:189]
	s_waitcnt lgkmcnt(0)
	v_fma_f64 v[188:189], v[190:191], -0.5, v[196:197]
	v_add_f64 v[190:191], v[96:97], v[94:95]
	v_fma_f64 v[216:217], v[220:221], s[16:17], v[188:189]
	v_fma_f64 v[190:191], v[190:191], -0.5, v[198:199]
	v_fma_f64 v[188:189], v[220:221], s[18:19], v[188:189]
	v_fma_f64 v[216:217], v[222:223], s[4:5], v[216:217]
	;; [unrolled: 1-line block ×9, first 2 shown]
	v_add_f64 v[188:189], v[182:183], v[184:185]
	v_fma_f64 v[218:219], v[90:91], s[20:21], v[218:219]
	v_fma_f64 v[90:91], v[90:91], s[20:21], v[190:191]
	v_add_f64 v[190:191], v[92:93], v[180:181]
	v_fma_f64 v[188:189], v[188:189], -0.5, v[196:197]
	v_add_f64 v[196:197], v[196:197], v[182:183]
	v_fma_f64 v[190:191], v[190:191], -0.5, v[198:199]
	v_add_f64 v[198:199], v[198:199], v[92:93]
	v_add_f64 v[182:183], v[196:197], v[186:187]
	v_add_f64 v[92:93], v[96:97], -v[92:93]
	v_add_f64 v[186:187], v[198:199], v[96:97]
	v_add_f64 v[96:97], v[182:183], v[98:99]
	v_add_f64 v[98:99], v[98:99], -v[184:185]
	;; [unrolled: 3-line block ×3, first 2 shown]
	v_fma_f64 v[96:97], v[222:223], s[18:19], v[188:189]
	v_add_f64 v[98:99], v[228:229], v[98:99]
	v_add_f64 v[184:185], v[186:187], v[180:181]
	v_fma_f64 v[186:187], v[226:227], s[16:17], v[190:191]
	v_fma_f64 v[180:181], v[222:223], s[16:17], v[188:189]
	;; [unrolled: 1-line block ×3, first 2 shown]
	v_add_f64 v[190:191], v[92:93], v[94:95]
	v_fma_f64 v[92:93], v[220:221], s[4:5], v[96:97]
	ds_write_b128 v194, v[140:143]
	ds_write_b128 v194, v[160:163] offset:880
	ds_write_b128 v194, v[172:175] offset:1760
	;; [unrolled: 1-line block ×21, first 2 shown]
	v_add_co_u32 v178, s0, s2, v194
	v_add_co_ci_u32_e64 v179, null, s3, 0, s0
	v_fma_f64 v[94:95], v[224:225], s[12:13], v[186:187]
	v_fma_f64 v[96:97], v[220:221], s[12:13], v[180:181]
	;; [unrolled: 1-line block ×3, first 2 shown]
	v_add_co_u32 v176, s0, 0x800, v178
	v_fma_f64 v[92:93], v[98:99], s[20:21], v[92:93]
	v_add_co_ci_u32_e64 v177, s0, 0, v179, s0
	v_add_co_u32 v174, s0, 0x1000, v178
	v_add_co_ci_u32_e64 v175, s0, 0, v179, s0
	v_add_co_u32 v172, s0, 0x1800, v178
	;; [unrolled: 2-line block ×4, first 2 shown]
	v_fma_f64 v[94:95], v[190:191], s[20:21], v[94:95]
	v_fma_f64 v[96:97], v[98:99], s[20:21], v[96:97]
	;; [unrolled: 1-line block ×3, first 2 shown]
	ds_write_b128 v194, v[92:95] offset:12320
	ds_write_b128 v194, v[96:99] offset:16720
	;; [unrolled: 1-line block ×3, first 2 shown]
	s_waitcnt lgkmcnt(0)
	s_barrier
	buffer_gl0_inv
	global_load_dwordx4 v[102:105], v194, s[2:3]
	ds_read_b128 v[106:109], v194
	ds_read_b128 v[150:153], v194 offset:880
	v_add_co_ci_u32_e64 v169, s0, 0, v179, s0
	ds_read_b128 v[110:113], v194 offset:2000
	ds_read_b128 v[154:157], v194 offset:2880
	ds_read_b128 v[114:117], v194 offset:4000
	ds_read_b128 v[180:183], v194 offset:4880
	global_load_dwordx4 v[196:199], v[168:169], off offset:640
	ds_read_b128 v[118:121], v194 offset:6000
	ds_read_b128 v[122:125], v194 offset:8000
	;; [unrolled: 1-line block ×4, first 2 shown]
	v_add_co_u32 v166, s0, 0x3000, v178
	v_add_co_ci_u32_e64 v167, s0, 0, v179, s0
	ds_read_b128 v[134:137], v194 offset:14000
	ds_read_b128 v[224:227], v194 offset:14880
	v_add_co_u32 v162, s0, 0x3800, v178
	v_add_co_ci_u32_e64 v163, s0, 0, v179, s0
	ds_read_b128 v[138:141], v194 offset:16000
	ds_read_b128 v[228:231], v194 offset:16880
	;; [unrolled: 4-line block ×4, first 2 shown]
	ds_read_b128 v[216:219], v194 offset:10880
	ds_read_b128 v[220:223], v194 offset:12880
	s_waitcnt vmcnt(1) lgkmcnt(19)
	v_mul_f64 v[100:101], v[108:109], v[104:105]
	v_mul_f64 v[104:105], v[106:107], v[104:105]
	v_fma_f64 v[100:101], v[106:107], v[102:103], -v[100:101]
	v_fma_f64 v[102:103], v[108:109], v[102:103], v[104:105]
	global_load_dwordx4 v[106:109], v194, s[2:3] offset:2000
	s_waitcnt vmcnt(0) lgkmcnt(17)
	v_mul_f64 v[104:105], v[112:113], v[108:109]
	v_mul_f64 v[108:109], v[110:111], v[108:109]
	v_fma_f64 v[104:105], v[110:111], v[106:107], -v[104:105]
	v_fma_f64 v[106:107], v[112:113], v[106:107], v[108:109]
	global_load_dwordx4 v[110:113], v[176:177], off offset:1952
	s_waitcnt vmcnt(0) lgkmcnt(15)
	v_mul_f64 v[108:109], v[116:117], v[112:113]
	v_mul_f64 v[112:113], v[114:115], v[112:113]
	v_fma_f64 v[108:109], v[114:115], v[110:111], -v[108:109]
	v_fma_f64 v[110:111], v[116:117], v[110:111], v[112:113]
	global_load_dwordx4 v[114:117], v[174:175], off offset:1904
	;; [unrolled: 6-line block ×9, first 2 shown]
	s_waitcnt vmcnt(0) lgkmcnt(3)
	v_mul_f64 v[140:141], v[148:149], v[144:145]
	v_mul_f64 v[144:145], v[146:147], v[144:145]
	v_fma_f64 v[140:141], v[146:147], v[142:143], -v[140:141]
	v_fma_f64 v[142:143], v[148:149], v[142:143], v[144:145]
	global_load_dwordx4 v[146:149], v194, s[2:3] offset:880
	s_waitcnt vmcnt(0)
	v_mul_f64 v[144:145], v[152:153], v[148:149]
	v_mul_f64 v[148:149], v[150:151], v[148:149]
	v_fma_f64 v[144:145], v[150:151], v[146:147], -v[144:145]
	v_fma_f64 v[146:147], v[152:153], v[146:147], v[148:149]
	global_load_dwordx4 v[150:153], v[176:177], off offset:832
	s_waitcnt vmcnt(0)
	v_mul_f64 v[148:149], v[156:157], v[152:153]
	v_mul_f64 v[152:153], v[154:155], v[152:153]
	v_fma_f64 v[148:149], v[154:155], v[150:151], -v[148:149]
	v_fma_f64 v[150:151], v[156:157], v[150:151], v[152:153]
	global_load_dwordx4 v[154:157], v[174:175], off offset:784
	;; [unrolled: 6-line block ×3, first 2 shown]
	ds_read_b128 v[156:159], v194 offset:6880
	s_waitcnt vmcnt(0) lgkmcnt(0)
	v_mul_f64 v[184:185], v[158:159], v[182:183]
	v_mul_f64 v[182:183], v[156:157], v[182:183]
	v_fma_f64 v[156:157], v[156:157], v[180:181], -v[184:185]
	v_fma_f64 v[158:159], v[158:159], v[180:181], v[182:183]
	global_load_dwordx4 v[180:183], v[170:171], off offset:688
	ds_read_b128 v[184:187], v194 offset:8880
	s_waitcnt vmcnt(0) lgkmcnt(0)
	v_mul_f64 v[188:189], v[186:187], v[182:183]
	v_mul_f64 v[190:191], v[184:185], v[182:183]
	v_fma_f64 v[182:183], v[184:185], v[180:181], -v[188:189]
	v_fma_f64 v[184:185], v[186:187], v[180:181], v[190:191]
	v_mul_f64 v[180:181], v[218:219], v[198:199]
	v_mul_f64 v[186:187], v[216:217], v[198:199]
	v_fma_f64 v[216:217], v[216:217], v[196:197], -v[180:181]
	v_fma_f64 v[218:219], v[218:219], v[196:197], v[186:187]
	global_load_dwordx4 v[196:199], v[166:167], off offset:592
	s_waitcnt vmcnt(0)
	v_mul_f64 v[180:181], v[222:223], v[198:199]
	v_mul_f64 v[186:187], v[220:221], v[198:199]
	v_fma_f64 v[220:221], v[220:221], v[196:197], -v[180:181]
	v_fma_f64 v[222:223], v[222:223], v[196:197], v[186:187]
	global_load_dwordx4 v[196:199], v[162:163], off offset:544
	s_waitcnt vmcnt(0)
	;; [unrolled: 6-line block ×4, first 2 shown]
	v_mul_f64 v[180:181], v[234:235], v[198:199]
	v_mul_f64 v[186:187], v[232:233], v[198:199]
	v_fma_f64 v[232:233], v[232:233], v[196:197], -v[180:181]
	v_add_co_u32 v180, s0, 0x5000, v178
	v_add_co_ci_u32_e64 v181, s0, 0, v179, s0
	v_fma_f64 v[234:235], v[234:235], v[196:197], v[186:187]
	global_load_dwordx4 v[196:199], v[180:181], off offset:400
	s_waitcnt vmcnt(0)
	v_mul_f64 v[180:181], v[238:239], v[198:199]
	v_mul_f64 v[186:187], v[236:237], v[198:199]
	v_fma_f64 v[236:237], v[236:237], v[196:197], -v[180:181]
	v_fma_f64 v[238:239], v[238:239], v[196:197], v[186:187]
	ds_write_b128 v194, v[100:103]
	ds_write_b128 v194, v[104:107] offset:2000
	ds_write_b128 v194, v[108:111] offset:4000
	;; [unrolled: 1-line block ×21, first 2 shown]
	s_and_saveexec_b32 s0, vcc_lo
	s_cbranch_execz .LBB0_9
; %bb.8:
	s_clause 0x8
	global_load_dwordx4 v[100:103], v[178:179], off offset:1760
	global_load_dwordx4 v[104:107], v[176:177], off offset:1712
	;; [unrolled: 1-line block ×9, first 2 shown]
	v_lshl_or_b32 v140, v250, 4, 0x5500
	s_clause 0x1
	global_load_dwordx4 v[136:139], v[160:161], off offset:1328
	global_load_dwordx4 v[140:143], v140, s[2:3]
	ds_read_b128 v[144:147], v194 offset:1760
	ds_read_b128 v[148:151], v194 offset:3760
	;; [unrolled: 1-line block ×11, first 2 shown]
	s_waitcnt vmcnt(10) lgkmcnt(10)
	v_mul_f64 v[188:189], v[146:147], v[102:103]
	v_mul_f64 v[102:103], v[144:145], v[102:103]
	s_waitcnt vmcnt(9) lgkmcnt(9)
	v_mul_f64 v[190:191], v[150:151], v[106:107]
	v_mul_f64 v[106:107], v[148:149], v[106:107]
	;; [unrolled: 3-line block ×7, first 2 shown]
	v_fma_f64 v[144:145], v[144:145], v[100:101], -v[188:189]
	v_mul_f64 v[188:189], v[170:171], v[126:127]
	v_mul_f64 v[126:127], v[168:169], v[126:127]
	v_fma_f64 v[146:147], v[146:147], v[100:101], v[102:103]
	v_fma_f64 v[100:101], v[148:149], v[104:105], -v[190:191]
	s_waitcnt vmcnt(2) lgkmcnt(2)
	v_mul_f64 v[148:149], v[178:179], v[134:135]
	v_mul_f64 v[134:135], v[176:177], v[134:135]
	v_fma_f64 v[102:103], v[150:151], v[104:105], v[106:107]
	s_waitcnt vmcnt(1) lgkmcnt(1)
	v_mul_f64 v[150:151], v[182:183], v[138:139]
	v_mul_f64 v[138:139], v[180:181], v[138:139]
	v_fma_f64 v[104:105], v[152:153], v[108:109], -v[196:197]
	s_waitcnt vmcnt(0) lgkmcnt(0)
	v_mul_f64 v[152:153], v[186:187], v[142:143]
	v_mul_f64 v[142:143], v[184:185], v[142:143]
	v_fma_f64 v[106:107], v[154:155], v[108:109], v[110:111]
	v_fma_f64 v[108:109], v[156:157], v[112:113], -v[198:199]
	v_fma_f64 v[110:111], v[158:159], v[112:113], v[114:115]
	v_fma_f64 v[112:113], v[160:161], v[116:117], -v[216:217]
	;; [unrolled: 2-line block ×8, first 2 shown]
	v_fma_f64 v[138:139], v[186:187], v[140:141], v[142:143]
	ds_write_b128 v194, v[144:147] offset:1760
	ds_write_b128 v194, v[100:103] offset:3760
	;; [unrolled: 1-line block ×11, first 2 shown]
.LBB0_9:
	s_or_b32 exec_lo, exec_lo, s0
	s_waitcnt lgkmcnt(0)
	s_barrier
	buffer_gl0_inv
	ds_read_b128 v[156:159], v194
	ds_read_b128 v[172:175], v194 offset:880
	ds_read_b128 v[160:163], v194 offset:2000
	;; [unrolled: 1-line block ×21, first 2 shown]
	s_and_saveexec_b32 s0, vcc_lo
	s_cbranch_execz .LBB0_11
; %bb.10:
	ds_read_b128 v[92:95], v194 offset:1760
	ds_read_b128 v[96:99], v194 offset:3760
	;; [unrolled: 1-line block ×4, first 2 shown]
	s_waitcnt lgkmcnt(0)
	buffer_store_dword v188, off, s[40:43], 0 offset:112 ; 4-byte Folded Spill
	buffer_store_dword v189, off, s[40:43], 0 offset:116 ; 4-byte Folded Spill
	buffer_store_dword v190, off, s[40:43], 0 offset:120 ; 4-byte Folded Spill
	buffer_store_dword v191, off, s[40:43], 0 offset:124 ; 4-byte Folded Spill
	ds_read_b128 v[188:191], v194 offset:9760
	s_waitcnt lgkmcnt(0)
	buffer_store_dword v188, off, s[40:43], 0 offset:96 ; 4-byte Folded Spill
	buffer_store_dword v189, off, s[40:43], 0 offset:100 ; 4-byte Folded Spill
	buffer_store_dword v190, off, s[40:43], 0 offset:104 ; 4-byte Folded Spill
	buffer_store_dword v191, off, s[40:43], 0 offset:108 ; 4-byte Folded Spill
	ds_read_b128 v[188:191], v194 offset:11760
	;; [unrolled: 6-line block ×7, first 2 shown]
	s_waitcnt lgkmcnt(0)
	buffer_store_dword v188, off, s[40:43], 0 ; 4-byte Folded Spill
	buffer_store_dword v189, off, s[40:43], 0 offset:4 ; 4-byte Folded Spill
	buffer_store_dword v190, off, s[40:43], 0 offset:8 ; 4-byte Folded Spill
	;; [unrolled: 1-line block ×3, first 2 shown]
.LBB0_11:
	s_or_b32 exec_lo, exec_lo, s0
	s_waitcnt lgkmcnt(19)
	v_add_f64 v[188:189], v[156:157], v[160:161]
	v_add_f64 v[190:191], v[158:159], v[162:163]
	s_mov_b32 s2, 0xf8bb580b
	s_mov_b32 s12, 0x8eee2c13
	;; [unrolled: 1-line block ×20, first 2 shown]
	s_waitcnt lgkmcnt(17)
	v_add_f64 v[188:189], v[188:189], v[148:149]
	v_add_f64 v[190:191], v[190:191], v[150:151]
	s_mov_b32 s17, 0x3fe14ced
	s_mov_b32 s16, s2
	s_mov_b32 s25, 0x3fed1bb4
	s_mov_b32 s24, s12
	s_mov_b32 s29, 0x3fefac9e
	s_mov_b32 s28, s20
	s_mov_b32 s39, 0x3fe82f19
	s_mov_b32 s38, s26
	s_mov_b32 s37, 0x3fd207e7
	s_mov_b32 s36, s34
	s_waitcnt lgkmcnt(15)
	v_add_f64 v[188:189], v[188:189], v[140:141]
	v_add_f64 v[190:191], v[190:191], v[142:143]
	s_waitcnt lgkmcnt(13)
	v_add_f64 v[188:189], v[188:189], v[132:133]
	v_add_f64 v[190:191], v[190:191], v[134:135]
	;; [unrolled: 3-line block ×8, first 2 shown]
	buffer_store_dword v188, off, s[40:43], 0 offset:1056 ; 4-byte Folded Spill
	buffer_store_dword v189, off, s[40:43], 0 offset:1060 ; 4-byte Folded Spill
	;; [unrolled: 1-line block ×4, first 2 shown]
	v_add_f64 v[190:191], v[162:163], v[186:187]
	v_add_f64 v[162:163], v[162:163], -v[186:187]
	v_add_f64 v[188:189], v[160:161], v[184:185]
	v_add_f64 v[160:161], v[160:161], -v[184:185]
	s_waitcnt lgkmcnt(0)
	s_waitcnt_vscnt null, 0x0
	s_barrier
	buffer_gl0_inv
	v_mul_f64 v[196:197], v[190:191], s[0:1]
	v_mul_f64 v[184:185], v[162:163], s[2:3]
	;; [unrolled: 1-line block ×10, first 2 shown]
	v_fma_f64 v[198:199], v[160:161], s[16:17], v[196:197]
	v_fma_f64 v[186:187], v[188:189], s[0:1], v[184:185]
	v_fma_f64 v[184:185], v[188:189], s[0:1], -v[184:185]
	v_fma_f64 v[218:219], v[188:189], s[4:5], v[216:217]
	v_fma_f64 v[216:217], v[188:189], s[4:5], -v[216:217]
	v_fma_f64 v[226:227], v[188:189], s[18:19], v[224:225]
	v_fma_f64 v[224:225], v[188:189], s[18:19], -v[224:225]
	v_fma_f64 v[234:235], v[188:189], s[22:23], v[232:233]
	v_fma_f64 v[232:233], v[188:189], s[22:23], -v[232:233]
	v_fma_f64 v[240:241], v[188:189], s[30:31], v[162:163]
	v_fma_f64 v[162:163], v[188:189], s[30:31], -v[162:163]
	v_fma_f64 v[196:197], v[160:161], s[2:3], v[196:197]
	v_fma_f64 v[222:223], v[160:161], s[24:25], v[220:221]
	;; [unrolled: 1-line block ×9, first 2 shown]
	v_add_f64 v[198:199], v[158:159], v[198:199]
	v_add_f64 v[186:187], v[156:157], v[186:187]
	;; [unrolled: 1-line block ×12, first 2 shown]
	v_add_f64 v[150:151], v[150:151], -v[154:155]
	v_add_f64 v[196:197], v[158:159], v[196:197]
	v_add_f64 v[222:223], v[158:159], v[222:223]
	;; [unrolled: 1-line block ×10, first 2 shown]
	v_add_f64 v[148:149], v[148:149], -v[152:153]
	v_mul_f64 v[152:153], v[150:151], s[12:13]
	v_fma_f64 v[154:155], v[160:161], s[4:5], v[152:153]
	v_fma_f64 v[152:153], v[160:161], s[4:5], -v[152:153]
	v_add_f64 v[154:155], v[154:155], v[186:187]
	v_mul_f64 v[186:187], v[162:163], s[4:5]
	v_add_f64 v[152:153], v[152:153], v[184:185]
	v_fma_f64 v[188:189], v[148:149], s[24:25], v[186:187]
	v_fma_f64 v[184:185], v[148:149], s[12:13], v[186:187]
	v_mul_f64 v[186:187], v[150:151], s[26:27]
	v_add_f64 v[188:189], v[188:189], v[198:199]
	v_add_f64 v[184:185], v[184:185], v[196:197]
	v_fma_f64 v[190:191], v[160:161], s[22:23], v[186:187]
	v_mul_f64 v[196:197], v[162:163], s[22:23]
	v_fma_f64 v[186:187], v[160:161], s[22:23], -v[186:187]
	v_add_f64 v[190:191], v[190:191], v[218:219]
	v_fma_f64 v[198:199], v[148:149], s[38:39], v[196:197]
	v_add_f64 v[186:187], v[186:187], v[216:217]
	v_fma_f64 v[196:197], v[148:149], s[26:27], v[196:197]
	v_mul_f64 v[216:217], v[150:151], s[36:37]
	v_add_f64 v[198:199], v[198:199], v[222:223]
	v_add_f64 v[196:197], v[196:197], v[220:221]
	v_fma_f64 v[218:219], v[160:161], s[30:31], v[216:217]
	v_mul_f64 v[220:221], v[162:163], s[30:31]
	v_fma_f64 v[216:217], v[160:161], s[30:31], -v[216:217]
	v_add_f64 v[218:219], v[218:219], v[226:227]
	v_fma_f64 v[222:223], v[148:149], s[34:35], v[220:221]
	v_add_f64 v[216:217], v[216:217], v[224:225]
	v_fma_f64 v[220:221], v[148:149], s[36:37], v[220:221]
	v_mul_f64 v[224:225], v[150:151], s[28:29]
	v_mul_f64 v[150:151], v[150:151], s[16:17]
	v_add_f64 v[222:223], v[222:223], v[230:231]
	v_add_f64 v[220:221], v[220:221], v[228:229]
	v_fma_f64 v[226:227], v[160:161], s[18:19], v[224:225]
	v_mul_f64 v[228:229], v[162:163], s[18:19]
	v_mul_f64 v[162:163], v[162:163], s[0:1]
	v_fma_f64 v[224:225], v[160:161], s[18:19], -v[224:225]
	v_add_f64 v[226:227], v[226:227], v[234:235]
	v_fma_f64 v[230:231], v[148:149], s[20:21], v[228:229]
	v_fma_f64 v[228:229], v[148:149], s[28:29], v[228:229]
	;; [unrolled: 1-line block ×4, first 2 shown]
	v_add_f64 v[224:225], v[224:225], v[232:233]
	v_fma_f64 v[232:233], v[160:161], s[0:1], v[150:151]
	v_fma_f64 v[150:151], v[160:161], s[0:1], -v[150:151]
	v_add_f64 v[230:231], v[230:231], v[238:239]
	v_add_f64 v[228:229], v[228:229], v[236:237]
	;; [unrolled: 1-line block ×5, first 2 shown]
	v_add_f64 v[142:143], v[142:143], -v[146:147]
	v_add_f64 v[150:151], v[150:151], v[156:157]
	v_add_f64 v[156:157], v[140:141], v[144:145]
	v_add_f64 v[140:141], v[140:141], -v[144:145]
	v_add_f64 v[232:233], v[232:233], v[240:241]
	v_mul_f64 v[144:145], v[142:143], s[20:21]
	v_fma_f64 v[146:147], v[156:157], s[18:19], v[144:145]
	v_fma_f64 v[144:145], v[156:157], s[18:19], -v[144:145]
	v_add_f64 v[146:147], v[146:147], v[154:155]
	v_mul_f64 v[154:155], v[158:159], s[18:19]
	v_add_f64 v[144:145], v[144:145], v[152:153]
	v_fma_f64 v[160:161], v[140:141], s[28:29], v[154:155]
	v_fma_f64 v[152:153], v[140:141], s[20:21], v[154:155]
	v_mul_f64 v[154:155], v[142:143], s[36:37]
	v_add_f64 v[160:161], v[160:161], v[188:189]
	v_add_f64 v[152:153], v[152:153], v[184:185]
	v_fma_f64 v[162:163], v[156:157], s[30:31], v[154:155]
	v_fma_f64 v[154:155], v[156:157], s[30:31], -v[154:155]
	v_mul_f64 v[184:185], v[158:159], s[30:31]
	v_add_f64 v[162:163], v[162:163], v[190:191]
	v_add_f64 v[154:155], v[154:155], v[186:187]
	v_mul_f64 v[186:187], v[142:143], s[24:25]
	v_fma_f64 v[188:189], v[140:141], s[34:35], v[184:185]
	v_fma_f64 v[184:185], v[140:141], s[36:37], v[184:185]
	v_fma_f64 v[190:191], v[156:157], s[4:5], v[186:187]
	v_fma_f64 v[186:187], v[156:157], s[4:5], -v[186:187]
	v_add_f64 v[184:185], v[184:185], v[196:197]
	v_mul_f64 v[196:197], v[158:159], s[4:5]
	v_add_f64 v[188:189], v[188:189], v[198:199]
	v_add_f64 v[190:191], v[190:191], v[218:219]
	;; [unrolled: 1-line block ×3, first 2 shown]
	v_mul_f64 v[216:217], v[142:143], s[2:3]
	v_fma_f64 v[198:199], v[140:141], s[12:13], v[196:197]
	v_fma_f64 v[196:197], v[140:141], s[24:25], v[196:197]
	v_mul_f64 v[142:143], v[142:143], s[26:27]
	v_fma_f64 v[218:219], v[156:157], s[0:1], v[216:217]
	v_fma_f64 v[216:217], v[156:157], s[0:1], -v[216:217]
	v_add_f64 v[196:197], v[196:197], v[220:221]
	v_mul_f64 v[220:221], v[158:159], s[0:1]
	v_mul_f64 v[158:159], v[158:159], s[22:23]
	v_add_f64 v[198:199], v[198:199], v[222:223]
	v_add_f64 v[218:219], v[218:219], v[226:227]
	;; [unrolled: 1-line block ×3, first 2 shown]
	v_fma_f64 v[224:225], v[156:157], s[22:23], v[142:143]
	v_fma_f64 v[142:143], v[156:157], s[22:23], -v[142:143]
	v_fma_f64 v[222:223], v[140:141], s[16:17], v[220:221]
	v_fma_f64 v[220:221], v[140:141], s[2:3], v[220:221]
	;; [unrolled: 1-line block ×4, first 2 shown]
	v_add_f64 v[224:225], v[224:225], v[232:233]
	v_add_f64 v[142:143], v[142:143], v[150:151]
	;; [unrolled: 1-line block ×3, first 2 shown]
	v_add_f64 v[134:135], v[134:135], -v[138:139]
	v_add_f64 v[220:221], v[220:221], v[228:229]
	v_add_f64 v[140:141], v[140:141], v[148:149]
	;; [unrolled: 1-line block ×3, first 2 shown]
	v_add_f64 v[132:133], v[132:133], -v[136:137]
	v_add_f64 v[226:227], v[226:227], v[234:235]
	v_add_f64 v[232:233], v[126:127], -v[130:131]
	v_add_f64 v[222:223], v[222:223], v[230:231]
	;; [unrolled: 2-line block ×3, first 2 shown]
	v_mul_f64 v[158:159], v[150:151], s[18:19]
	v_mul_f64 v[136:137], v[134:135], s[26:27]
	v_fma_f64 v[138:139], v[148:149], s[22:23], v[136:137]
	v_fma_f64 v[136:137], v[148:149], s[22:23], -v[136:137]
	v_add_f64 v[138:139], v[138:139], v[146:147]
	v_mul_f64 v[146:147], v[150:151], s[22:23]
	v_add_f64 v[144:145], v[136:137], v[144:145]
	v_fma_f64 v[136:137], v[132:133], s[26:27], v[146:147]
	v_fma_f64 v[156:157], v[132:133], s[38:39], v[146:147]
	v_add_f64 v[146:147], v[136:137], v[152:153]
	v_mul_f64 v[136:137], v[134:135], s[28:29]
	v_add_f64 v[156:157], v[156:157], v[160:161]
	v_fma_f64 v[160:161], v[132:133], s[20:21], v[158:159]
	v_fma_f64 v[152:153], v[148:149], s[18:19], v[136:137]
	v_fma_f64 v[136:137], v[148:149], s[18:19], -v[136:137]
	v_add_f64 v[160:161], v[160:161], v[188:189]
	v_add_f64 v[152:153], v[152:153], v[162:163]
	;; [unrolled: 1-line block ×3, first 2 shown]
	v_fma_f64 v[136:137], v[132:133], s[28:29], v[158:159]
	v_add_f64 v[158:159], v[136:137], v[184:185]
	v_mul_f64 v[136:137], v[134:135], s[2:3]
	v_mul_f64 v[184:185], v[150:151], s[0:1]
	v_fma_f64 v[162:163], v[148:149], s[0:1], v[136:137]
	v_fma_f64 v[136:137], v[148:149], s[0:1], -v[136:137]
	v_fma_f64 v[188:189], v[132:133], s[16:17], v[184:185]
	v_add_f64 v[162:163], v[162:163], v[190:191]
	v_add_f64 v[186:187], v[136:137], v[186:187]
	v_fma_f64 v[136:137], v[132:133], s[2:3], v[184:185]
	v_add_f64 v[188:189], v[188:189], v[198:199]
	v_add_f64 v[184:185], v[136:137], v[196:197]
	v_mul_f64 v[136:137], v[134:135], s[34:35]
	v_mul_f64 v[196:197], v[150:151], s[30:31]
	;; [unrolled: 1-line block ×3, first 2 shown]
	v_fma_f64 v[190:191], v[148:149], s[30:31], v[136:137]
	v_fma_f64 v[136:137], v[148:149], s[30:31], -v[136:137]
	v_fma_f64 v[198:199], v[132:133], s[36:37], v[196:197]
	v_add_f64 v[190:191], v[190:191], v[218:219]
	v_add_f64 v[216:217], v[136:137], v[216:217]
	v_fma_f64 v[136:137], v[132:133], s[34:35], v[196:197]
	v_add_f64 v[198:199], v[198:199], v[222:223]
	v_add_f64 v[196:197], v[136:137], v[220:221]
	v_fma_f64 v[136:137], v[148:149], s[4:5], v[134:135]
	v_fma_f64 v[134:135], v[148:149], s[4:5], -v[134:135]
	v_add_f64 v[218:219], v[136:137], v[224:225]
	v_mul_f64 v[136:137], v[150:151], s[4:5]
	v_add_f64 v[222:223], v[134:135], v[142:143]
	v_fma_f64 v[150:151], v[132:133], s[12:13], v[136:137]
	v_fma_f64 v[132:133], v[132:133], s[24:25], v[136:137]
	v_add_f64 v[220:221], v[150:151], v[226:227]
	v_add_f64 v[226:227], v[124:125], v[128:129]
	v_mul_f64 v[124:125], v[232:233], s[34:35]
	v_add_f64 v[224:225], v[132:133], v[140:141]
	v_fma_f64 v[126:127], v[226:227], s[30:31], v[124:125]
	v_fma_f64 v[124:125], v[226:227], s[30:31], -v[124:125]
	v_add_f64 v[136:137], v[126:127], v[138:139]
	v_mul_f64 v[126:127], v[228:229], s[30:31]
	v_add_f64 v[124:125], v[124:125], v[144:145]
	v_fma_f64 v[128:129], v[230:231], s[36:37], v[126:127]
	v_fma_f64 v[126:127], v[230:231], s[34:35], v[126:127]
	v_add_f64 v[138:139], v[128:129], v[156:157]
	v_mul_f64 v[128:129], v[232:233], s[16:17]
	v_add_f64 v[126:127], v[126:127], v[146:147]
	v_mul_f64 v[156:157], v[232:233], s[20:21]
	v_fma_f64 v[130:131], v[226:227], s[0:1], v[128:129]
	v_fma_f64 v[128:129], v[226:227], s[0:1], -v[128:129]
	v_add_f64 v[144:145], v[130:131], v[152:153]
	v_mul_f64 v[130:131], v[228:229], s[0:1]
	v_add_f64 v[128:129], v[128:129], v[154:155]
	v_fma_f64 v[132:133], v[230:231], s[2:3], v[130:131]
	v_fma_f64 v[130:131], v[230:231], s[16:17], v[130:131]
	v_add_f64 v[146:147], v[132:133], v[160:161]
	v_mul_f64 v[132:133], v[232:233], s[26:27]
	v_add_f64 v[130:131], v[130:131], v[158:159]
	v_fma_f64 v[158:159], v[226:227], s[18:19], v[156:157]
	v_fma_f64 v[156:157], v[226:227], s[18:19], -v[156:157]
	v_fma_f64 v[134:135], v[226:227], s[22:23], v[132:133]
	v_fma_f64 v[132:133], v[226:227], s[22:23], -v[132:133]
	v_add_f64 v[160:161], v[158:159], v[218:219]
	v_mul_f64 v[158:159], v[228:229], s[18:19]
	v_add_f64 v[156:157], v[156:157], v[222:223]
	v_add_f64 v[148:149], v[134:135], v[162:163]
	v_mul_f64 v[134:135], v[228:229], s[22:23]
	v_add_f64 v[132:133], v[132:133], v[186:187]
	v_add_f64 v[186:187], v[174:175], v[178:179]
	v_fma_f64 v[162:163], v[230:231], s[28:29], v[158:159]
	v_fma_f64 v[158:159], v[230:231], s[20:21], v[158:159]
	;; [unrolled: 1-line block ×4, first 2 shown]
	v_add_f64 v[186:187], v[186:187], v[166:167]
	v_add_f64 v[162:163], v[162:163], v[220:221]
	;; [unrolled: 1-line block ×7, first 2 shown]
	v_mul_f64 v[140:141], v[232:233], s[24:25]
	v_add_f64 v[188:189], v[176:177], v[180:181]
	v_add_f64 v[176:177], v[176:177], -v[180:181]
	v_add_f64 v[184:185], v[184:185], v[164:165]
	v_add_f64 v[186:187], v[186:187], v[114:115]
	v_fma_f64 v[142:143], v[226:227], s[4:5], v[140:141]
	v_fma_f64 v[140:141], v[226:227], s[4:5], -v[140:141]
	v_add_f64 v[184:185], v[184:185], v[108:109]
	v_add_f64 v[186:187], v[186:187], v[102:103]
	;; [unrolled: 1-line block ×3, first 2 shown]
	v_mul_f64 v[142:143], v[228:229], s[4:5]
	v_add_f64 v[190:191], v[178:179], v[182:183]
	v_add_f64 v[178:179], v[178:179], -v[182:183]
	v_add_f64 v[140:141], v[140:141], v[216:217]
	v_add_f64 v[184:185], v[184:185], v[112:113]
	;; [unrolled: 1-line block ×3, first 2 shown]
	v_fma_f64 v[154:155], v[230:231], s[12:13], v[142:143]
	v_fma_f64 v[142:143], v[230:231], s[24:25], v[142:143]
	v_mul_f64 v[216:217], v[178:179], s[12:13]
	v_mul_f64 v[224:225], v[178:179], s[20:21]
	;; [unrolled: 1-line block ×6, first 2 shown]
	v_add_f64 v[184:185], v[184:185], v[100:101]
	v_add_f64 v[186:187], v[186:187], v[118:119]
	;; [unrolled: 1-line block ×4, first 2 shown]
	v_mul_f64 v[196:197], v[190:191], s[0:1]
	v_fma_f64 v[218:219], v[188:189], s[4:5], v[216:217]
	v_fma_f64 v[216:217], v[188:189], s[4:5], -v[216:217]
	v_fma_f64 v[226:227], v[188:189], s[18:19], v[224:225]
	v_fma_f64 v[224:225], v[188:189], s[18:19], -v[224:225]
	;; [unrolled: 2-line block ×3, first 2 shown]
	v_mul_f64 v[190:191], v[190:191], s[30:31]
	v_fma_f64 v[222:223], v[176:177], s[24:25], v[220:221]
	v_fma_f64 v[220:221], v[176:177], s[12:13], v[220:221]
	;; [unrolled: 1-line block ×6, first 2 shown]
	v_add_f64 v[184:185], v[184:185], v[104:105]
	v_add_f64 v[186:187], v[186:187], v[122:123]
	v_fma_f64 v[198:199], v[176:177], s[16:17], v[196:197]
	v_fma_f64 v[196:197], v[176:177], s[2:3], v[196:197]
	v_add_f64 v[218:219], v[172:173], v[218:219]
	v_add_f64 v[216:217], v[172:173], v[216:217]
	;; [unrolled: 1-line block ×6, first 2 shown]
	v_fma_f64 v[242:243], v[176:177], s[36:37], v[190:191]
	v_fma_f64 v[176:177], v[176:177], s[34:35], v[190:191]
	v_add_f64 v[222:223], v[174:175], v[222:223]
	v_add_f64 v[220:221], v[174:175], v[220:221]
	;; [unrolled: 1-line block ×13, first 2 shown]
	v_add_f64 v[164:165], v[164:165], -v[168:169]
	v_add_f64 v[184:185], v[184:185], v[120:121]
	v_add_f64 v[186:187], v[186:187], v[182:183]
	;; [unrolled: 1-line block ×4, first 2 shown]
	v_mul_f64 v[180:181], v[178:179], s[2:3]
	v_mul_f64 v[178:179], v[178:179], s[34:35]
	v_fma_f64 v[182:183], v[188:189], s[0:1], v[180:181]
	v_fma_f64 v[180:181], v[188:189], s[0:1], -v[180:181]
	v_fma_f64 v[240:241], v[188:189], s[30:31], v[178:179]
	v_fma_f64 v[178:179], v[188:189], s[30:31], -v[178:179]
	v_add_f64 v[182:183], v[172:173], v[182:183]
	v_add_f64 v[180:181], v[172:173], v[180:181]
	;; [unrolled: 1-line block ×5, first 2 shown]
	v_add_f64 v[166:167], v[166:167], -v[170:171]
	v_mul_f64 v[168:169], v[166:167], s[12:13]
	v_fma_f64 v[170:171], v[176:177], s[4:5], v[168:169]
	v_fma_f64 v[168:169], v[176:177], s[4:5], -v[168:169]
	v_add_f64 v[170:171], v[170:171], v[182:183]
	v_mul_f64 v[182:183], v[178:179], s[4:5]
	v_add_f64 v[168:169], v[168:169], v[180:181]
	v_fma_f64 v[180:181], v[164:165], s[12:13], v[182:183]
	v_fma_f64 v[188:189], v[164:165], s[24:25], v[182:183]
	v_mul_f64 v[182:183], v[166:167], s[26:27]
	v_add_f64 v[180:181], v[180:181], v[196:197]
	v_mul_f64 v[196:197], v[178:179], s[22:23]
	v_add_f64 v[188:189], v[188:189], v[198:199]
	v_fma_f64 v[190:191], v[176:177], s[22:23], v[182:183]
	v_fma_f64 v[182:183], v[176:177], s[22:23], -v[182:183]
	v_fma_f64 v[198:199], v[164:165], s[38:39], v[196:197]
	v_fma_f64 v[196:197], v[164:165], s[26:27], v[196:197]
	v_add_f64 v[190:191], v[190:191], v[218:219]
	v_add_f64 v[182:183], v[182:183], v[216:217]
	v_mul_f64 v[216:217], v[166:167], s[36:37]
	v_add_f64 v[198:199], v[198:199], v[222:223]
	v_add_f64 v[196:197], v[196:197], v[220:221]
	v_mul_f64 v[220:221], v[178:179], s[30:31]
	v_fma_f64 v[218:219], v[176:177], s[30:31], v[216:217]
	v_fma_f64 v[216:217], v[176:177], s[30:31], -v[216:217]
	v_fma_f64 v[222:223], v[164:165], s[34:35], v[220:221]
	v_fma_f64 v[220:221], v[164:165], s[36:37], v[220:221]
	v_add_f64 v[218:219], v[218:219], v[226:227]
	v_add_f64 v[216:217], v[216:217], v[224:225]
	v_mul_f64 v[224:225], v[166:167], s[28:29]
	v_mul_f64 v[166:167], v[166:167], s[16:17]
	v_add_f64 v[222:223], v[222:223], v[230:231]
	v_add_f64 v[220:221], v[220:221], v[228:229]
	v_mul_f64 v[228:229], v[178:179], s[18:19]
	v_mul_f64 v[178:179], v[178:179], s[0:1]
	v_fma_f64 v[226:227], v[176:177], s[18:19], v[224:225]
	v_fma_f64 v[224:225], v[176:177], s[18:19], -v[224:225]
	v_fma_f64 v[230:231], v[164:165], s[20:21], v[228:229]
	v_fma_f64 v[228:229], v[164:165], s[28:29], v[228:229]
	v_add_f64 v[226:227], v[226:227], v[234:235]
	v_add_f64 v[224:225], v[224:225], v[232:233]
	v_fma_f64 v[232:233], v[176:177], s[0:1], v[166:167]
	v_fma_f64 v[234:235], v[164:165], s[2:3], v[178:179]
	;; [unrolled: 1-line block ×3, first 2 shown]
	v_fma_f64 v[166:167], v[176:177], s[0:1], -v[166:167]
	v_add_f64 v[230:231], v[230:231], v[238:239]
	v_add_f64 v[238:239], v[108:109], v[120:121]
	v_add_f64 v[120:121], v[108:109], -v[120:121]
	v_add_f64 v[108:109], v[110:111], -v[122:123]
	v_add_f64 v[232:233], v[232:233], v[240:241]
	v_add_f64 v[240:241], v[110:111], v[122:123]
	;; [unrolled: 1-line block ×6, first 2 shown]
	v_mul_f64 v[110:111], v[108:109], s[20:21]
	v_fma_f64 v[122:123], v[238:239], s[18:19], v[110:111]
	v_fma_f64 v[110:111], v[238:239], s[18:19], -v[110:111]
	v_add_f64 v[242:243], v[122:123], v[170:171]
	v_mul_f64 v[122:123], v[240:241], s[18:19]
	v_add_f64 v[244:245], v[110:111], v[168:169]
	v_fma_f64 v[110:111], v[120:121], s[20:21], v[122:123]
	v_fma_f64 v[164:165], v[120:121], s[28:29], v[122:123]
	v_add_f64 v[246:247], v[110:111], v[180:181]
	v_mul_f64 v[110:111], v[108:109], s[36:37]
	v_add_f64 v[188:189], v[164:165], v[188:189]
	v_fma_f64 v[122:123], v[238:239], s[30:31], v[110:111]
	v_fma_f64 v[110:111], v[238:239], s[30:31], -v[110:111]
	v_add_f64 v[190:191], v[122:123], v[190:191]
	v_mul_f64 v[122:123], v[240:241], s[30:31]
	v_add_f64 v[248:249], v[110:111], v[182:183]
	v_fma_f64 v[110:111], v[120:121], s[36:37], v[122:123]
	v_fma_f64 v[164:165], v[120:121], s[34:35], v[122:123]
	v_add_f64 v[196:197], v[110:111], v[196:197]
	v_mul_f64 v[110:111], v[108:109], s[24:25]
	v_add_f64 v[198:199], v[164:165], v[198:199]
	;; [unrolled: 10-line block ×3, first 2 shown]
	v_fma_f64 v[122:123], v[238:239], s[0:1], v[110:111]
	v_fma_f64 v[110:111], v[238:239], s[0:1], -v[110:111]
	v_add_f64 v[174:175], v[122:123], v[226:227]
	v_mul_f64 v[122:123], v[240:241], s[0:1]
	v_add_f64 v[170:171], v[110:111], v[224:225]
	v_fma_f64 v[110:111], v[120:121], s[2:3], v[122:123]
	v_fma_f64 v[164:165], v[120:121], s[16:17], v[122:123]
	v_mul_f64 v[122:123], v[240:241], s[22:23]
	v_add_f64 v[172:173], v[110:111], v[228:229]
	v_mul_f64 v[110:111], v[108:109], s[26:27]
	v_add_f64 v[168:169], v[164:165], v[230:231]
	v_add_f64 v[228:229], v[100:101], v[104:105]
	;; [unrolled: 1-line block ×3, first 2 shown]
	v_fma_f64 v[108:109], v[238:239], s[22:23], v[110:111]
	v_fma_f64 v[110:111], v[238:239], s[22:23], -v[110:111]
	v_add_f64 v[164:165], v[108:109], v[232:233]
	v_add_f64 v[110:111], v[110:111], v[166:167]
	;; [unrolled: 1-line block ×3, first 2 shown]
	v_fma_f64 v[108:109], v[120:121], s[38:39], v[122:123]
	v_fma_f64 v[120:121], v[120:121], s[26:27], v[122:123]
	v_add_f64 v[122:123], v[112:113], v[116:117]
	v_add_f64 v[112:113], v[112:113], -v[116:117]
	v_add_f64 v[114:115], v[114:115], -v[118:119]
	;; [unrolled: 1-line block ×3, first 2 shown]
	v_mul_f64 v[216:217], v[166:167], s[22:23]
	v_add_f64 v[108:109], v[108:109], v[234:235]
	v_add_f64 v[234:235], v[102:103], -v[106:107]
	v_add_f64 v[120:121], v[120:121], v[236:237]
	v_mul_f64 v[106:107], v[230:231], s[30:31]
	v_mul_f64 v[116:117], v[114:115], s[26:27]
	v_fma_f64 v[218:219], v[112:113], s[38:39], v[216:217]
	v_fma_f64 v[216:217], v[112:113], s[26:27], v[216:217]
	v_mul_f64 v[104:105], v[234:235], s[34:35]
	v_fma_f64 v[102:103], v[232:233], s[36:37], v[106:107]
	v_fma_f64 v[118:119], v[122:123], s[22:23], v[116:117]
	v_fma_f64 v[116:117], v[122:123], s[22:23], -v[116:117]
	v_fma_f64 v[106:107], v[232:233], s[34:35], v[106:107]
	v_add_f64 v[188:189], v[218:219], v[188:189]
	v_mul_f64 v[218:219], v[114:115], s[28:29]
	v_fma_f64 v[100:101], v[228:229], s[30:31], v[104:105]
	v_fma_f64 v[104:105], v[228:229], s[30:31], -v[104:105]
	v_add_f64 v[216:217], v[216:217], v[246:247]
	v_add_f64 v[118:119], v[118:119], v[242:243]
	;; [unrolled: 1-line block ×4, first 2 shown]
	v_fma_f64 v[220:221], v[122:123], s[18:19], v[218:219]
	v_fma_f64 v[218:219], v[122:123], s[18:19], -v[218:219]
	v_add_f64 v[106:107], v[106:107], v[216:217]
	v_add_f64 v[100:101], v[100:101], v[118:119]
	;; [unrolled: 1-line block ×4, first 2 shown]
	v_mul_f64 v[220:221], v[166:167], s[18:19]
	v_add_f64 v[218:219], v[218:219], v[248:249]
	v_fma_f64 v[222:223], v[112:113], s[20:21], v[220:221]
	v_fma_f64 v[220:221], v[112:113], s[28:29], v[220:221]
	v_add_f64 v[198:199], v[222:223], v[198:199]
	v_add_f64 v[196:197], v[220:221], v[196:197]
	v_mul_f64 v[220:221], v[114:115], s[2:3]
	v_fma_f64 v[222:223], v[122:123], s[0:1], v[220:221]
	v_fma_f64 v[220:221], v[122:123], s[0:1], -v[220:221]
	v_add_f64 v[182:183], v[222:223], v[182:183]
	v_mul_f64 v[222:223], v[166:167], s[0:1]
	v_add_f64 v[178:179], v[220:221], v[178:179]
	v_fma_f64 v[220:221], v[112:113], s[2:3], v[222:223]
	v_fma_f64 v[224:225], v[112:113], s[16:17], v[222:223]
	v_add_f64 v[180:181], v[220:221], v[180:181]
	v_mul_f64 v[220:221], v[114:115], s[34:35]
	v_mul_f64 v[114:115], v[114:115], s[24:25]
	v_add_f64 v[176:177], v[224:225], v[176:177]
	v_fma_f64 v[222:223], v[122:123], s[30:31], v[220:221]
	v_fma_f64 v[220:221], v[122:123], s[30:31], -v[220:221]
	v_add_f64 v[174:175], v[222:223], v[174:175]
	v_mul_f64 v[222:223], v[166:167], s[30:31]
	v_add_f64 v[170:171], v[220:221], v[170:171]
	v_fma_f64 v[220:221], v[112:113], s[34:35], v[222:223]
	v_fma_f64 v[224:225], v[112:113], s[36:37], v[222:223]
	v_add_f64 v[172:173], v[220:221], v[172:173]
	v_fma_f64 v[220:221], v[122:123], s[4:5], v[114:115]
	v_add_f64 v[168:169], v[224:225], v[168:169]
	v_add_f64 v[220:221], v[220:221], v[164:165]
	v_mul_f64 v[164:165], v[166:167], s[4:5]
	v_fma_f64 v[166:167], v[112:113], s[12:13], v[164:165]
	v_add_f64 v[222:223], v[166:167], v[108:109]
	v_fma_f64 v[108:109], v[122:123], s[4:5], -v[114:115]
	v_mul_f64 v[122:123], v[230:231], s[22:23]
	v_mul_f64 v[114:115], v[230:231], s[0:1]
	v_add_f64 v[224:225], v[108:109], v[110:111]
	v_fma_f64 v[108:109], v[112:113], s[24:25], v[164:165]
	v_fma_f64 v[118:119], v[232:233], s[38:39], v[122:123]
	;; [unrolled: 1-line block ×3, first 2 shown]
	v_mul_f64 v[112:113], v[234:235], s[16:17]
	v_fma_f64 v[110:111], v[232:233], s[2:3], v[114:115]
	v_fma_f64 v[114:115], v[232:233], s[16:17], v[114:115]
	v_add_f64 v[226:227], v[108:109], v[120:121]
	v_mul_f64 v[120:121], v[234:235], s[26:27]
	v_add_f64 v[122:123], v[122:123], v[180:181]
	v_add_f64 v[118:119], v[118:119], v[176:177]
	v_mul_f64 v[176:177], v[234:235], s[24:25]
	v_fma_f64 v[108:109], v[228:229], s[0:1], v[112:113]
	v_fma_f64 v[112:113], v[228:229], s[0:1], -v[112:113]
	v_add_f64 v[110:111], v[110:111], v[198:199]
	v_add_f64 v[114:115], v[114:115], v[196:197]
	v_fma_f64 v[116:117], v[228:229], s[22:23], v[120:121]
	v_fma_f64 v[120:121], v[228:229], s[22:23], -v[120:121]
	v_fma_f64 v[164:165], v[228:229], s[4:5], v[176:177]
	v_add_f64 v[108:109], v[108:109], v[190:191]
	v_add_f64 v[112:113], v[112:113], v[218:219]
	;; [unrolled: 1-line block ×3, first 2 shown]
	s_clause 0x3
	buffer_load_dword v180, off, s[40:43], 0 offset:1056
	buffer_load_dword v181, off, s[40:43], 0 offset:1060
	;; [unrolled: 1-line block ×4, first 2 shown]
	v_add_f64 v[120:121], v[120:121], v[178:179]
	v_add_f64 v[164:165], v[164:165], v[174:175]
	v_mul_f64 v[174:175], v[230:231], s[4:5]
	v_mul_f64 v[178:179], v[230:231], s[18:19]
	v_fma_f64 v[166:167], v[232:233], s[12:13], v[174:175]
	v_add_f64 v[166:167], v[166:167], v[168:169]
	v_fma_f64 v[168:169], v[228:229], s[4:5], -v[176:177]
	v_mul_f64 v[176:177], v[234:235], s[20:21]
	v_add_f64 v[168:169], v[168:169], v[170:171]
	v_fma_f64 v[170:171], v[232:233], s[24:25], v[174:175]
	v_fma_f64 v[174:175], v[232:233], s[28:29], v[178:179]
	;; [unrolled: 1-line block ×3, first 2 shown]
	v_add_f64 v[170:171], v[170:171], v[172:173]
	v_fma_f64 v[172:173], v[228:229], s[18:19], v[176:177]
	v_fma_f64 v[176:177], v[228:229], s[18:19], -v[176:177]
	v_add_f64 v[174:175], v[174:175], v[222:223]
	v_add_f64 v[178:179], v[178:179], v[226:227]
	;; [unrolled: 1-line block ×4, first 2 shown]
	s_waitcnt vmcnt(0)
	ds_write_b128 v195, v[180:183]
	ds_write_b128 v195, v[136:139] offset:16
	ds_write_b128 v195, v[144:147] offset:32
	;; [unrolled: 1-line block ×10, first 2 shown]
	ds_write_b128 v193, v[184:187]
	ds_write_b128 v193, v[100:103] offset:16
	ds_write_b128 v193, v[108:111] offset:32
	;; [unrolled: 1-line block ×10, first 2 shown]
	s_and_saveexec_b32 s33, vcc_lo
	s_cbranch_execz .LBB0_13
; %bb.12:
	s_clause 0x1f
	buffer_load_dword v232, off, s[40:43], 0 offset:64
	buffer_load_dword v233, off, s[40:43], 0 offset:68
	;; [unrolled: 1-line block ×28, first 2 shown]
	buffer_load_dword v216, off, s[40:43], 0
	buffer_load_dword v217, off, s[40:43], 0 offset:4
	buffer_load_dword v218, off, s[40:43], 0 offset:8
	;; [unrolled: 1-line block ×3, first 2 shown]
	s_waitcnt vmcnt(26)
	v_add_f64 v[128:129], v[236:237], -v[232:233]
	s_waitcnt vmcnt(18)
	v_add_f64 v[130:131], v[240:241], -v[228:229]
	s_waitcnt vmcnt(10)
	v_add_f64 v[140:141], v[244:245], -v[224:225]
	s_waitcnt vmcnt(6)
	v_add_f64 v[144:145], v[88:89], -v[220:221]
	s_waitcnt vmcnt(2)
	v_add_f64 v[148:149], v[96:97], -v[216:217]
	s_waitcnt vmcnt(0)
	v_add_f64 v[150:151], v[98:99], v[218:219]
	v_add_f64 v[146:147], v[90:91], v[222:223]
	v_add_f64 v[170:171], v[98:99], -v[218:219]
	v_add_f64 v[142:143], v[246:247], v[226:227]
	v_add_f64 v[166:167], v[90:91], -v[222:223]
	v_add_f64 v[168:169], v[96:97], v[216:217]
	v_add_f64 v[138:139], v[242:243], v[230:231]
	v_add_f64 v[158:159], v[242:243], -v[230:231]
	v_add_f64 v[162:163], v[246:247], -v[226:227]
	v_add_f64 v[164:165], v[88:89], v[220:221]
	v_add_f64 v[136:137], v[238:239], v[234:235]
	v_add_f64 v[154:155], v[238:239], -v[234:235]
	v_add_f64 v[156:157], v[240:241], v[228:229]
	v_add_f64 v[160:161], v[244:245], v[224:225]
	;; [unrolled: 1-line block ×3, first 2 shown]
	v_mul_f64 v[104:105], v[128:129], s[20:21]
	v_mul_f64 v[106:107], v[130:131], s[24:25]
	;; [unrolled: 1-line block ×16, first 2 shown]
	v_fma_f64 v[100:101], v[136:137], s[18:19], v[104:105]
	v_fma_f64 v[102:103], v[138:139], s[4:5], v[106:107]
	;; [unrolled: 1-line block ×5, first 2 shown]
	v_fma_f64 v[116:117], v[150:151], s[30:31], -v[116:117]
	v_fma_f64 v[112:113], v[146:147], s[0:1], -v[112:113]
	v_fma_f64 v[134:135], v[168:169], s[30:31], -v[132:133]
	v_fma_f64 v[108:109], v[142:143], s[22:23], -v[108:109]
	v_fma_f64 v[126:127], v[164:165], s[0:1], -v[124:125]
	v_fma_f64 v[106:107], v[138:139], s[4:5], -v[106:107]
	v_fma_f64 v[104:105], v[136:137], s[18:19], -v[104:105]
	v_fma_f64 v[178:179], v[168:169], s[22:23], -v[176:177]
	v_fma_f64 v[122:123], v[160:161], s[22:23], -v[120:121]
	v_fma_f64 v[174:175], v[164:165], s[18:19], -v[172:173]
	v_fma_f64 v[186:187], v[168:169], s[18:19], -v[184:185]
	v_fma_f64 v[182:183], v[164:165], s[30:31], -v[180:181]
	v_fma_f64 v[197:198], v[168:169], s[4:5], -v[195:196]
	v_fma_f64 v[190:191], v[164:165], s[22:23], -v[188:189]
	v_add_f64 v[118:119], v[94:95], v[118:119]
	v_add_f64 v[116:117], v[94:95], v[116:117]
	;; [unrolled: 1-line block ×8, first 2 shown]
	v_mul_f64 v[116:117], v[140:141], s[2:3]
	v_add_f64 v[126:127], v[126:127], v[134:135]
	v_add_f64 v[174:175], v[174:175], v[178:179]
	;; [unrolled: 1-line block ×5, first 2 shown]
	v_mul_f64 v[114:115], v[158:159], s[24:25]
	v_add_f64 v[108:109], v[108:109], v[112:113]
	v_fma_f64 v[112:113], v[164:165], s[0:1], v[124:125]
	v_mul_f64 v[124:125], v[148:149], s[26:27]
	v_add_f64 v[122:123], v[122:123], v[126:127]
	v_add_f64 v[102:103], v[102:103], v[110:111]
	v_mul_f64 v[110:111], v[154:155], s[20:21]
	v_fma_f64 v[118:119], v[156:157], s[4:5], -v[114:115]
	v_add_f64 v[106:107], v[106:107], v[108:109]
	v_fma_f64 v[108:109], v[156:157], s[4:5], v[114:115]
	v_fma_f64 v[114:115], v[168:169], s[30:31], v[132:133]
	;; [unrolled: 1-line block ×3, first 2 shown]
	v_fma_f64 v[124:125], v[150:151], s[22:23], -v[124:125]
	v_mul_f64 v[132:133], v[162:163], s[2:3]
	v_add_f64 v[102:103], v[100:101], v[102:103]
	v_fma_f64 v[100:101], v[152:153], s[18:19], -v[110:111]
	v_add_f64 v[118:119], v[118:119], v[122:123]
	v_add_f64 v[106:107], v[104:105], v[106:107]
	v_fma_f64 v[104:105], v[152:153], s[18:19], v[110:111]
	v_fma_f64 v[110:111], v[160:161], s[22:23], v[120:121]
	v_add_f64 v[114:115], v[92:93], v[114:115]
	v_mul_f64 v[120:121], v[144:145], s[28:29]
	v_add_f64 v[126:127], v[94:95], v[126:127]
	v_add_f64 v[124:125], v[94:95], v[124:125]
	v_fma_f64 v[134:135], v[160:161], s[0:1], -v[132:133]
	v_add_f64 v[100:101], v[100:101], v[118:119]
	v_fma_f64 v[118:119], v[142:143], s[0:1], v[116:117]
	v_fma_f64 v[116:117], v[142:143], s[0:1], -v[116:117]
	v_add_f64 v[112:113], v[112:113], v[114:115]
	v_fma_f64 v[122:123], v[146:147], s[18:19], v[120:121]
	v_fma_f64 v[120:121], v[146:147], s[18:19], -v[120:121]
	v_mul_f64 v[114:115], v[130:131], s[34:35]
	v_add_f64 v[134:135], v[134:135], v[174:175]
	v_add_f64 v[110:111], v[110:111], v[112:113]
	;; [unrolled: 1-line block ×4, first 2 shown]
	v_mul_f64 v[112:113], v[128:129], s[24:25]
	v_mul_f64 v[124:125], v[140:141], s[24:25]
	v_add_f64 v[108:109], v[108:109], v[110:111]
	v_fma_f64 v[110:111], v[138:139], s[30:31], v[114:115]
	v_add_f64 v[118:119], v[118:119], v[122:123]
	v_mul_f64 v[122:123], v[158:159], s[34:35]
	v_fma_f64 v[114:115], v[138:139], s[30:31], -v[114:115]
	v_add_f64 v[116:117], v[116:117], v[120:121]
	v_fma_f64 v[120:121], v[164:165], s[18:19], v[172:173]
	v_mul_f64 v[172:173], v[148:149], s[20:21]
	v_add_f64 v[104:105], v[104:105], v[108:109]
	v_fma_f64 v[108:109], v[136:137], s[4:5], v[112:113]
	v_add_f64 v[110:111], v[110:111], v[118:119]
	v_mul_f64 v[118:119], v[154:155], s[24:25]
	v_fma_f64 v[126:127], v[156:157], s[30:31], -v[122:123]
	v_fma_f64 v[112:113], v[136:137], s[4:5], -v[112:113]
	v_add_f64 v[114:115], v[114:115], v[116:117]
	v_fma_f64 v[116:117], v[156:157], s[30:31], v[122:123]
	v_fma_f64 v[122:123], v[168:169], s[22:23], v[176:177]
	;; [unrolled: 1-line block ×3, first 2 shown]
	v_mul_f64 v[176:177], v[162:163], s[24:25]
	v_add_f64 v[110:111], v[108:109], v[110:111]
	v_fma_f64 v[108:109], v[152:153], s[4:5], -v[118:119]
	v_add_f64 v[126:127], v[126:127], v[134:135]
	v_add_f64 v[114:115], v[112:113], v[114:115]
	v_fma_f64 v[112:113], v[152:153], s[4:5], v[118:119]
	v_fma_f64 v[118:119], v[160:161], s[0:1], v[132:133]
	v_add_f64 v[122:123], v[92:93], v[122:123]
	v_mul_f64 v[132:133], v[144:145], s[36:37]
	v_add_f64 v[174:175], v[94:95], v[174:175]
	v_fma_f64 v[178:179], v[160:161], s[4:5], -v[176:177]
	v_add_f64 v[108:109], v[108:109], v[126:127]
	v_fma_f64 v[126:127], v[142:143], s[4:5], v[124:125]
	v_fma_f64 v[124:125], v[142:143], s[4:5], -v[124:125]
	v_add_f64 v[120:121], v[120:121], v[122:123]
	v_fma_f64 v[134:135], v[146:147], s[30:31], v[132:133]
	v_mul_f64 v[122:123], v[130:131], s[2:3]
	v_add_f64 v[178:179], v[178:179], v[182:183]
	v_add_f64 v[118:119], v[118:119], v[120:121]
	;; [unrolled: 1-line block ×3, first 2 shown]
	v_mul_f64 v[120:121], v[128:129], s[26:27]
	v_mul_f64 v[174:175], v[158:159], s[2:3]
	v_add_f64 v[116:117], v[116:117], v[118:119]
	v_fma_f64 v[118:119], v[138:139], s[0:1], v[122:123]
	v_add_f64 v[126:127], v[126:127], v[134:135]
	v_mul_f64 v[134:135], v[154:155], s[26:27]
	v_fma_f64 v[122:123], v[138:139], s[0:1], -v[122:123]
	v_add_f64 v[112:113], v[112:113], v[116:117]
	v_fma_f64 v[116:117], v[136:137], s[22:23], v[120:121]
	v_add_f64 v[118:119], v[118:119], v[126:127]
	v_fma_f64 v[126:127], v[156:157], s[0:1], -v[174:175]
	v_fma_f64 v[120:121], v[136:137], s[22:23], -v[120:121]
	v_add_f64 v[118:119], v[116:117], v[118:119]
	v_fma_f64 v[116:117], v[152:153], s[22:23], -v[134:135]
	v_add_f64 v[126:127], v[126:127], v[178:179]
	v_add_f64 v[116:117], v[116:117], v[126:127]
	v_fma_f64 v[126:127], v[146:147], s[30:31], -v[132:133]
	v_fma_f64 v[132:133], v[150:151], s[18:19], -v[172:173]
	v_mul_f64 v[172:173], v[140:141], s[36:37]
	v_mul_f64 v[140:141], v[140:141], s[20:21]
	v_add_f64 v[132:133], v[94:95], v[132:133]
	v_add_f64 v[126:127], v[126:127], v[132:133]
	v_fma_f64 v[132:133], v[164:165], s[30:31], v[180:181]
	v_mul_f64 v[180:181], v[148:149], s[12:13]
	v_mul_f64 v[148:149], v[148:149], s[2:3]
	v_add_f64 v[124:125], v[124:125], v[126:127]
	v_fma_f64 v[182:183], v[150:151], s[4:5], v[180:181]
	v_fma_f64 v[180:181], v[150:151], s[4:5], -v[180:181]
	v_add_f64 v[122:123], v[122:123], v[124:125]
	v_fma_f64 v[124:125], v[160:161], s[4:5], v[176:177]
	v_mul_f64 v[176:177], v[144:145], s[26:27]
	v_add_f64 v[182:183], v[94:95], v[182:183]
	v_add_f64 v[180:181], v[94:95], v[180:181]
	v_mul_f64 v[144:145], v[144:145], s[12:13]
	v_add_f64 v[126:127], v[120:121], v[122:123]
	v_fma_f64 v[120:121], v[152:153], s[22:23], v[134:135]
	v_fma_f64 v[134:135], v[168:169], s[18:19], v[184:185]
	;; [unrolled: 1-line block ×4, first 2 shown]
	v_fma_f64 v[176:177], v[146:147], s[22:23], -v[176:177]
	v_fma_f64 v[174:175], v[142:143], s[30:31], v[172:173]
	v_fma_f64 v[172:173], v[142:143], s[30:31], -v[172:173]
	v_mul_f64 v[184:185], v[162:163], s[36:37]
	v_mul_f64 v[162:163], v[162:163], s[20:21]
	v_add_f64 v[134:135], v[92:93], v[134:135]
	v_add_f64 v[178:179], v[178:179], v[182:183]
	;; [unrolled: 1-line block ×3, first 2 shown]
	v_fma_f64 v[180:181], v[150:151], s[0:1], v[148:149]
	v_fma_f64 v[186:187], v[160:161], s[30:31], -v[184:185]
	v_add_f64 v[132:133], v[132:133], v[134:135]
	v_mul_f64 v[134:135], v[130:131], s[28:29]
	v_add_f64 v[174:175], v[174:175], v[178:179]
	v_mul_f64 v[178:179], v[158:159], s[28:29]
	v_add_f64 v[172:173], v[172:173], v[176:177]
	v_fma_f64 v[176:177], v[164:165], s[22:23], v[188:189]
	v_add_f64 v[186:187], v[186:187], v[190:191]
	v_add_f64 v[180:181], v[94:95], v[180:181]
	v_mul_f64 v[158:159], v[158:159], s[26:27]
	v_add_f64 v[124:125], v[124:125], v[132:133]
	v_mul_f64 v[132:133], v[128:129], s[16:17]
	v_fma_f64 v[182:183], v[156:157], s[18:19], -v[178:179]
	v_add_f64 v[122:123], v[122:123], v[124:125]
	v_add_f64 v[182:183], v[182:183], v[186:187]
	;; [unrolled: 1-line block ×3, first 2 shown]
	v_fma_f64 v[122:123], v[138:139], s[18:19], v[134:135]
	v_fma_f64 v[134:135], v[138:139], s[18:19], -v[134:135]
	v_fma_f64 v[120:121], v[136:137], s[0:1], v[132:133]
	v_fma_f64 v[132:133], v[136:137], s[0:1], -v[132:133]
	v_add_f64 v[122:123], v[122:123], v[174:175]
	v_add_f64 v[134:135], v[134:135], v[172:173]
	v_fma_f64 v[172:173], v[156:157], s[18:19], v[178:179]
	v_fma_f64 v[178:179], v[168:169], s[4:5], v[195:196]
	v_mul_f64 v[174:175], v[154:155], s[16:17]
	v_mul_f64 v[154:155], v[154:155], s[34:35]
	v_add_f64 v[122:123], v[120:121], v[122:123]
	v_add_f64 v[134:135], v[132:133], v[134:135]
	;; [unrolled: 1-line block ×3, first 2 shown]
	v_fma_f64 v[120:121], v[152:153], s[0:1], -v[174:175]
	v_fma_f64 v[132:133], v[152:153], s[0:1], v[174:175]
	v_fma_f64 v[174:175], v[160:161], s[30:31], v[184:185]
	v_add_f64 v[176:177], v[176:177], v[178:179]
	v_add_f64 v[120:121], v[120:121], v[182:183]
	v_fma_f64 v[178:179], v[146:147], s[4:5], v[144:145]
	v_fma_f64 v[182:183], v[168:169], s[0:1], -v[170:171]
	v_add_f64 v[174:175], v[174:175], v[176:177]
	v_fma_f64 v[176:177], v[142:143], s[18:19], v[140:141]
	v_fma_f64 v[140:141], v[142:143], s[18:19], -v[140:141]
	v_fma_f64 v[142:143], v[146:147], s[4:5], -v[144:145]
	v_fma_f64 v[146:147], v[168:169], s[0:1], v[170:171]
	v_add_f64 v[182:183], v[92:93], v[182:183]
	v_fma_f64 v[144:145], v[150:151], s[0:1], -v[148:149]
	v_add_f64 v[178:179], v[178:179], v[180:181]
	v_fma_f64 v[180:181], v[164:165], s[4:5], -v[166:167]
	v_add_f64 v[172:173], v[172:173], v[174:175]
	v_mul_f64 v[174:175], v[130:131], s[26:27]
	v_add_f64 v[146:147], v[92:93], v[146:147]
	v_add_f64 v[92:93], v[92:93], v[96:97]
	;; [unrolled: 1-line block ×5, first 2 shown]
	v_fma_f64 v[178:179], v[160:161], s[18:19], -v[162:163]
	v_add_f64 v[180:181], v[180:181], v[182:183]
	v_add_f64 v[132:133], v[132:133], v[172:173]
	v_mul_f64 v[172:173], v[128:129], s[34:35]
	v_fma_f64 v[130:131], v[138:139], s[22:23], v[174:175]
	v_fma_f64 v[138:139], v[138:139], s[22:23], -v[174:175]
	v_add_f64 v[88:89], v[92:93], v[88:89]
	buffer_load_dword v92, off, s[40:43], 0 offset:1076 ; 4-byte Folded Reload
	v_add_f64 v[90:91], v[94:95], v[90:91]
	v_add_f64 v[142:143], v[142:143], v[144:145]
	v_fma_f64 v[144:145], v[164:165], s[4:5], v[166:167]
	v_add_f64 v[178:179], v[178:179], v[180:181]
	v_fma_f64 v[128:129], v[136:137], s[30:31], v[172:173]
	v_fma_f64 v[136:137], v[136:137], s[30:31], -v[172:173]
	v_add_f64 v[130:131], v[130:131], v[176:177]
	v_fma_f64 v[176:177], v[156:157], s[22:23], -v[158:159]
	v_add_f64 v[88:89], v[88:89], v[244:245]
	v_add_f64 v[90:91], v[90:91], v[246:247]
	;; [unrolled: 1-line block ×3, first 2 shown]
	v_fma_f64 v[142:143], v[160:161], s[18:19], v[162:163]
	v_add_f64 v[144:145], v[144:145], v[146:147]
	v_add_f64 v[130:131], v[128:129], v[130:131]
	v_fma_f64 v[128:129], v[152:153], s[30:31], -v[154:155]
	v_add_f64 v[88:89], v[88:89], v[240:241]
	v_add_f64 v[176:177], v[176:177], v[178:179]
	;; [unrolled: 1-line block ×4, first 2 shown]
	v_fma_f64 v[140:141], v[156:157], s[22:23], v[158:159]
	v_add_f64 v[142:143], v[142:143], v[144:145]
	v_add_f64 v[88:89], v[88:89], v[236:237]
	;; [unrolled: 1-line block ×5, first 2 shown]
	v_fma_f64 v[136:137], v[152:153], s[30:31], v[154:155]
	v_add_f64 v[140:141], v[140:141], v[142:143]
	v_add_f64 v[88:89], v[88:89], v[232:233]
	;; [unrolled: 1-line block ×12, first 2 shown]
	s_waitcnt vmcnt(0)
	v_lshlrev_b32_e32 v92, 4, v92
	ds_write_b128 v92, v[88:91]
	ds_write_b128 v92, v[136:139] offset:16
	ds_write_b128 v92, v[132:135] offset:32
	;; [unrolled: 1-line block ×10, first 2 shown]
.LBB0_13:
	s_or_b32 exec_lo, exec_lo, s33
	s_waitcnt lgkmcnt(0)
	s_barrier
	buffer_gl0_inv
	ds_read_b128 v[88:91], v194 offset:4400
	s_clause 0x3
	buffer_load_dword v94, off, s[40:43], 0 offset:744
	buffer_load_dword v95, off, s[40:43], 0 offset:748
	;; [unrolled: 1-line block ×4, first 2 shown]
	s_mov_b32 s16, 0x134454ff
	s_mov_b32 s17, 0xbfee6f0e
	;; [unrolled: 1-line block ×10, first 2 shown]
	s_waitcnt vmcnt(0) lgkmcnt(0)
	v_mul_f64 v[92:93], v[96:97], v[90:91]
	v_fma_f64 v[100:101], v[94:95], v[88:89], v[92:93]
	v_mul_f64 v[88:89], v[96:97], v[88:89]
	v_fma_f64 v[104:105], v[94:95], v[90:91], -v[88:89]
	ds_read_b128 v[88:91], v194 offset:8800
	s_clause 0x3
	buffer_load_dword v94, off, s[40:43], 0 offset:728
	buffer_load_dword v95, off, s[40:43], 0 offset:732
	;; [unrolled: 1-line block ×4, first 2 shown]
	s_waitcnt vmcnt(0) lgkmcnt(0)
	v_mul_f64 v[92:93], v[96:97], v[90:91]
	v_fma_f64 v[102:103], v[94:95], v[88:89], v[92:93]
	v_mul_f64 v[88:89], v[96:97], v[88:89]
	v_add_f64 v[195:196], v[100:101], -v[102:103]
	v_fma_f64 v[106:107], v[94:95], v[90:91], -v[88:89]
	ds_read_b128 v[88:91], v194 offset:13200
	s_clause 0x3
	buffer_load_dword v94, off, s[40:43], 0 offset:712
	buffer_load_dword v95, off, s[40:43], 0 offset:716
	;; [unrolled: 1-line block ×4, first 2 shown]
	s_waitcnt vmcnt(0) lgkmcnt(0)
	v_mul_f64 v[92:93], v[96:97], v[90:91]
	v_fma_f64 v[108:109], v[94:95], v[88:89], v[92:93]
	v_mul_f64 v[88:89], v[96:97], v[88:89]
	v_add_f64 v[188:189], v[102:103], -v[108:109]
	v_fma_f64 v[110:111], v[94:95], v[90:91], -v[88:89]
	ds_read_b128 v[88:91], v194 offset:17600
	s_clause 0x3
	buffer_load_dword v94, off, s[40:43], 0 offset:696
	buffer_load_dword v95, off, s[40:43], 0 offset:700
	;; [unrolled: 1-line block ×4, first 2 shown]
	v_add_f64 v[184:185], v[106:107], -v[110:111]
	s_waitcnt vmcnt(0) lgkmcnt(0)
	v_mul_f64 v[92:93], v[96:97], v[90:91]
	v_fma_f64 v[112:113], v[94:95], v[88:89], v[92:93]
	v_mul_f64 v[88:89], v[96:97], v[88:89]
	v_add_f64 v[190:191], v[100:101], -v[112:113]
	v_fma_f64 v[114:115], v[94:95], v[90:91], -v[88:89]
	ds_read_b128 v[88:91], v194 offset:5280
	s_clause 0x3
	buffer_load_dword v94, off, s[40:43], 0 offset:680
	buffer_load_dword v95, off, s[40:43], 0 offset:684
	;; [unrolled: 1-line block ×4, first 2 shown]
	v_add_f64 v[186:187], v[104:105], -v[114:115]
	s_waitcnt vmcnt(0) lgkmcnt(0)
	v_mul_f64 v[92:93], v[96:97], v[90:91]
	v_fma_f64 v[168:169], v[94:95], v[88:89], v[92:93]
	v_mul_f64 v[88:89], v[96:97], v[88:89]
	v_fma_f64 v[164:165], v[94:95], v[90:91], -v[88:89]
	ds_read_b128 v[88:91], v194 offset:9680
	s_clause 0x3
	buffer_load_dword v94, off, s[40:43], 0 offset:664
	buffer_load_dword v95, off, s[40:43], 0 offset:668
	buffer_load_dword v96, off, s[40:43], 0 offset:672
	buffer_load_dword v97, off, s[40:43], 0 offset:676
	s_waitcnt vmcnt(0) lgkmcnt(0)
	v_mul_f64 v[92:93], v[96:97], v[90:91]
	v_fma_f64 v[174:175], v[94:95], v[88:89], v[92:93]
	v_mul_f64 v[88:89], v[96:97], v[88:89]
	v_fma_f64 v[166:167], v[94:95], v[90:91], -v[88:89]
	ds_read_b128 v[88:91], v194 offset:14080
	s_clause 0x3
	buffer_load_dword v94, off, s[40:43], 0 offset:648
	buffer_load_dword v95, off, s[40:43], 0 offset:652
	buffer_load_dword v96, off, s[40:43], 0 offset:656
	buffer_load_dword v97, off, s[40:43], 0 offset:660
	s_waitcnt vmcnt(0) lgkmcnt(0)
	v_mul_f64 v[92:93], v[96:97], v[90:91]
	v_fma_f64 v[172:173], v[94:95], v[88:89], v[92:93]
	v_mul_f64 v[88:89], v[96:97], v[88:89]
	v_fma_f64 v[170:171], v[94:95], v[90:91], -v[88:89]
	ds_read_b128 v[88:91], v194 offset:18480
	s_clause 0x3
	buffer_load_dword v94, off, s[40:43], 0 offset:632
	buffer_load_dword v95, off, s[40:43], 0 offset:636
	buffer_load_dword v96, off, s[40:43], 0 offset:640
	buffer_load_dword v97, off, s[40:43], 0 offset:644
	s_waitcnt vmcnt(0) lgkmcnt(0)
	v_mul_f64 v[92:93], v[96:97], v[90:91]
	v_fma_f64 v[178:179], v[94:95], v[88:89], v[92:93]
	v_mul_f64 v[88:89], v[96:97], v[88:89]
	v_fma_f64 v[176:177], v[94:95], v[90:91], -v[88:89]
	ds_read_b128 v[88:91], v194 offset:6160
	s_clause 0x3
	buffer_load_dword v94, off, s[40:43], 0 offset:760
	buffer_load_dword v95, off, s[40:43], 0 offset:764
	buffer_load_dword v96, off, s[40:43], 0 offset:768
	buffer_load_dword v97, off, s[40:43], 0 offset:772
	s_waitcnt vmcnt(0) lgkmcnt(0)
	v_mul_f64 v[92:93], v[96:97], v[90:91]
	v_fma_f64 v[152:153], v[94:95], v[88:89], v[92:93]
	v_mul_f64 v[88:89], v[96:97], v[88:89]
	v_fma_f64 v[148:149], v[94:95], v[90:91], -v[88:89]
	ds_read_b128 v[88:91], v194 offset:10560
	s_clause 0x3
	buffer_load_dword v94, off, s[40:43], 0 offset:776
	buffer_load_dword v95, off, s[40:43], 0 offset:780
	buffer_load_dword v96, off, s[40:43], 0 offset:784
	buffer_load_dword v97, off, s[40:43], 0 offset:788
	s_waitcnt vmcnt(0) lgkmcnt(0)
	v_mul_f64 v[92:93], v[96:97], v[90:91]
	v_fma_f64 v[158:159], v[94:95], v[88:89], v[92:93]
	v_mul_f64 v[88:89], v[96:97], v[88:89]
	v_fma_f64 v[150:151], v[94:95], v[90:91], -v[88:89]
	ds_read_b128 v[88:91], v194 offset:14960
	s_clause 0x3
	buffer_load_dword v94, off, s[40:43], 0 offset:792
	buffer_load_dword v95, off, s[40:43], 0 offset:796
	buffer_load_dword v96, off, s[40:43], 0 offset:800
	buffer_load_dword v97, off, s[40:43], 0 offset:804
	s_waitcnt vmcnt(0) lgkmcnt(0)
	v_mul_f64 v[92:93], v[96:97], v[90:91]
	v_fma_f64 v[156:157], v[94:95], v[88:89], v[92:93]
	v_mul_f64 v[88:89], v[96:97], v[88:89]
	v_fma_f64 v[154:155], v[94:95], v[90:91], -v[88:89]
	ds_read_b128 v[88:91], v194 offset:19360
	s_clause 0x3
	buffer_load_dword v94, off, s[40:43], 0 offset:808
	buffer_load_dword v95, off, s[40:43], 0 offset:812
	buffer_load_dword v96, off, s[40:43], 0 offset:816
	buffer_load_dword v97, off, s[40:43], 0 offset:820
	s_waitcnt vmcnt(0) lgkmcnt(0)
	v_mul_f64 v[92:93], v[96:97], v[90:91]
	v_fma_f64 v[162:163], v[94:95], v[88:89], v[92:93]
	v_mul_f64 v[88:89], v[96:97], v[88:89]
	v_fma_f64 v[160:161], v[94:95], v[90:91], -v[88:89]
	ds_read_b128 v[88:91], v194 offset:7040
	s_clause 0x3
	buffer_load_dword v94, off, s[40:43], 0 offset:824
	buffer_load_dword v95, off, s[40:43], 0 offset:828
	buffer_load_dword v96, off, s[40:43], 0 offset:832
	buffer_load_dword v97, off, s[40:43], 0 offset:836
	s_waitcnt vmcnt(0) lgkmcnt(0)
	v_mul_f64 v[92:93], v[96:97], v[90:91]
	v_fma_f64 v[136:137], v[94:95], v[88:89], v[92:93]
	v_mul_f64 v[88:89], v[96:97], v[88:89]
	v_fma_f64 v[132:133], v[94:95], v[90:91], -v[88:89]
	ds_read_b128 v[88:91], v194 offset:11440
	s_clause 0x3
	buffer_load_dword v94, off, s[40:43], 0 offset:840
	buffer_load_dword v95, off, s[40:43], 0 offset:844
	buffer_load_dword v96, off, s[40:43], 0 offset:848
	buffer_load_dword v97, off, s[40:43], 0 offset:852
	s_waitcnt vmcnt(0) lgkmcnt(0)
	v_mul_f64 v[92:93], v[96:97], v[90:91]
	v_fma_f64 v[142:143], v[94:95], v[88:89], v[92:93]
	v_mul_f64 v[88:89], v[96:97], v[88:89]
	v_fma_f64 v[134:135], v[94:95], v[90:91], -v[88:89]
	ds_read_b128 v[88:91], v194 offset:15840
	s_clause 0x3
	buffer_load_dword v94, off, s[40:43], 0 offset:856
	buffer_load_dword v95, off, s[40:43], 0 offset:860
	buffer_load_dword v96, off, s[40:43], 0 offset:864
	buffer_load_dword v97, off, s[40:43], 0 offset:868
	s_waitcnt vmcnt(0) lgkmcnt(0)
	v_mul_f64 v[92:93], v[96:97], v[90:91]
	v_fma_f64 v[140:141], v[94:95], v[88:89], v[92:93]
	v_mul_f64 v[88:89], v[96:97], v[88:89]
	v_fma_f64 v[138:139], v[94:95], v[90:91], -v[88:89]
	ds_read_b128 v[88:91], v194 offset:20240
	s_clause 0x3
	buffer_load_dword v94, off, s[40:43], 0 offset:872
	buffer_load_dword v95, off, s[40:43], 0 offset:876
	buffer_load_dword v96, off, s[40:43], 0 offset:880
	buffer_load_dword v97, off, s[40:43], 0 offset:884
	s_waitcnt vmcnt(0) lgkmcnt(0)
	v_mul_f64 v[92:93], v[96:97], v[90:91]
	v_fma_f64 v[146:147], v[94:95], v[88:89], v[92:93]
	v_mul_f64 v[88:89], v[96:97], v[88:89]
	v_fma_f64 v[144:145], v[94:95], v[90:91], -v[88:89]
	ds_read_b128 v[88:91], v194 offset:7920
	s_clause 0x3
	buffer_load_dword v94, off, s[40:43], 0 offset:616
	buffer_load_dword v95, off, s[40:43], 0 offset:620
	buffer_load_dword v96, off, s[40:43], 0 offset:624
	buffer_load_dword v97, off, s[40:43], 0 offset:628
	s_waitcnt vmcnt(0) lgkmcnt(0)
	v_mul_f64 v[92:93], v[96:97], v[90:91]
	v_fma_f64 v[120:121], v[94:95], v[88:89], v[92:93]
	v_mul_f64 v[88:89], v[96:97], v[88:89]
	v_fma_f64 v[116:117], v[94:95], v[90:91], -v[88:89]
	ds_read_b128 v[88:91], v194 offset:12320
	s_clause 0x3
	buffer_load_dword v94, off, s[40:43], 0 offset:600
	buffer_load_dword v95, off, s[40:43], 0 offset:604
	buffer_load_dword v96, off, s[40:43], 0 offset:608
	buffer_load_dword v97, off, s[40:43], 0 offset:612
	s_waitcnt vmcnt(0) lgkmcnt(0)
	v_mul_f64 v[92:93], v[96:97], v[90:91]
	v_fma_f64 v[126:127], v[94:95], v[88:89], v[92:93]
	v_mul_f64 v[88:89], v[96:97], v[88:89]
	v_fma_f64 v[118:119], v[94:95], v[90:91], -v[88:89]
	ds_read_b128 v[88:91], v194 offset:16720
	s_clause 0x3
	buffer_load_dword v94, off, s[40:43], 0 offset:584
	buffer_load_dword v95, off, s[40:43], 0 offset:588
	buffer_load_dword v96, off, s[40:43], 0 offset:592
	buffer_load_dword v97, off, s[40:43], 0 offset:596
	s_waitcnt vmcnt(0) lgkmcnt(0)
	v_mul_f64 v[92:93], v[96:97], v[90:91]
	v_fma_f64 v[124:125], v[94:95], v[88:89], v[92:93]
	v_mul_f64 v[88:89], v[96:97], v[88:89]
	v_fma_f64 v[122:123], v[94:95], v[90:91], -v[88:89]
	ds_read_b128 v[88:91], v194 offset:21120
	s_clause 0x3
	buffer_load_dword v94, off, s[40:43], 0 offset:568
	buffer_load_dword v95, off, s[40:43], 0 offset:572
	buffer_load_dword v96, off, s[40:43], 0 offset:576
	buffer_load_dword v97, off, s[40:43], 0 offset:580
	s_waitcnt vmcnt(0) lgkmcnt(0)
	v_mul_f64 v[92:93], v[96:97], v[90:91]
	v_fma_f64 v[130:131], v[94:95], v[88:89], v[92:93]
	v_mul_f64 v[88:89], v[96:97], v[88:89]
	ds_read_b128 v[96:99], v194
	v_fma_f64 v[128:129], v[94:95], v[90:91], -v[88:89]
	v_add_f64 v[88:89], v[102:103], -v[100:101]
	v_add_f64 v[90:91], v[108:109], -v[112:113]
	v_add_f64 v[92:93], v[88:89], v[90:91]
	v_add_f64 v[88:89], v[106:107], -v[104:105]
	v_add_f64 v[90:91], v[110:111], -v[114:115]
	v_add_f64 v[94:95], v[88:89], v[90:91]
	v_add_f64 v[88:89], v[100:101], v[112:113]
	s_waitcnt lgkmcnt(0)
	v_fma_f64 v[180:181], v[88:89], -0.5, v[96:97]
	v_add_f64 v[88:89], v[104:105], v[114:115]
	v_fma_f64 v[182:183], v[88:89], -0.5, v[98:99]
	v_fma_f64 v[88:89], v[184:185], s[12:13], v[180:181]
	v_fma_f64 v[180:181], v[184:185], s[16:17], v[180:181]
	;; [unrolled: 1-line block ×10, first 2 shown]
	v_add_f64 v[180:181], v[102:103], v[108:109]
	v_fma_f64 v[90:91], v[94:95], s[0:1], v[90:91]
	v_fma_f64 v[94:95], v[94:95], s[0:1], v[182:183]
	v_add_f64 v[182:183], v[106:107], v[110:111]
	v_fma_f64 v[180:181], v[180:181], -0.5, v[96:97]
	v_add_f64 v[96:97], v[96:97], v[100:101]
	v_fma_f64 v[182:183], v[182:183], -0.5, v[98:99]
	v_add_f64 v[98:99], v[98:99], v[104:105]
	v_fma_f64 v[197:198], v[186:187], s[16:17], v[180:181]
	v_add_f64 v[96:97], v[96:97], v[102:103]
	v_fma_f64 v[180:181], v[186:187], s[12:13], v[180:181]
	v_add_f64 v[98:99], v[98:99], v[106:107]
	v_add_f64 v[96:97], v[96:97], v[108:109]
	v_add_f64 v[108:109], v[112:113], -v[108:109]
	v_add_f64 v[98:99], v[98:99], v[110:111]
	v_add_f64 v[100:101], v[96:97], v[112:113]
	v_add_f64 v[96:97], v[104:105], -v[106:107]
	v_fma_f64 v[104:105], v[190:191], s[12:13], v[182:183]
	v_fma_f64 v[106:107], v[190:191], s[16:17], v[182:183]
	v_add_f64 v[108:109], v[195:196], v[108:109]
	v_fma_f64 v[112:113], v[184:185], s[4:5], v[180:181]
	v_add_f64 v[102:103], v[98:99], v[114:115]
	v_add_f64 v[98:99], v[114:115], -v[110:111]
	v_fma_f64 v[110:111], v[184:185], s[2:3], v[197:198]
	v_fma_f64 v[114:115], v[188:189], s[2:3], v[106:107]
	v_add_f64 v[98:99], v[96:97], v[98:99]
	v_fma_f64 v[96:97], v[188:189], s[4:5], v[104:105]
	v_fma_f64 v[104:105], v[108:109], s[0:1], v[110:111]
	;; [unrolled: 1-line block ×5, first 2 shown]
	ds_read_b128 v[108:111], v194 offset:3520
	ds_read_b128 v[180:183], v194 offset:880
	;; [unrolled: 1-line block ×4, first 2 shown]
	s_waitcnt lgkmcnt(0)
	s_barrier
	buffer_gl0_inv
	ds_write_b128 v251, v[100:103]
	ds_write_b128 v251, v[104:107] offset:176
	ds_write_b128 v251, v[88:91] offset:352
	;; [unrolled: 1-line block ×4, first 2 shown]
	v_add_f64 v[88:89], v[174:175], -v[168:169]
	v_add_f64 v[90:91], v[172:173], -v[178:179]
	;; [unrolled: 1-line block ×6, first 2 shown]
	v_add_f64 v[92:93], v[88:89], v[90:91]
	v_add_f64 v[88:89], v[166:167], -v[164:165]
	v_add_f64 v[90:91], v[170:171], -v[176:177]
	v_add_f64 v[94:95], v[88:89], v[90:91]
	v_add_f64 v[88:89], v[168:169], v[178:179]
	;; [unrolled: 1-line block ×3, first 2 shown]
	v_fma_f64 v[96:97], v[88:89], -0.5, v[180:181]
	v_fma_f64 v[102:103], v[90:91], -0.5, v[182:183]
	v_fma_f64 v[88:89], v[100:101], s[12:13], v[96:97]
	v_fma_f64 v[90:91], v[104:105], s[16:17], v[102:103]
	;; [unrolled: 1-line block ×12, first 2 shown]
	v_add_f64 v[96:97], v[174:175], v[172:173]
	v_add_f64 v[102:103], v[166:167], v[170:171]
	v_fma_f64 v[96:97], v[96:97], -0.5, v[180:181]
	v_fma_f64 v[102:103], v[102:103], -0.5, v[182:183]
	v_add_f64 v[180:181], v[180:181], v[168:169]
	v_add_f64 v[182:183], v[182:183], v[164:165]
	v_add_f64 v[168:169], v[168:169], -v[174:175]
	v_add_f64 v[164:165], v[164:165], -v[166:167]
	v_fma_f64 v[188:189], v[98:99], s[12:13], v[96:97]
	v_add_f64 v[180:181], v[180:181], v[174:175]
	v_fma_f64 v[174:175], v[98:99], s[16:17], v[96:97]
	v_add_f64 v[96:97], v[182:183], v[166:167]
	v_add_f64 v[166:167], v[176:177], -v[170:171]
	v_add_f64 v[98:99], v[180:181], v[172:173]
	v_add_f64 v[172:173], v[178:179], -v[172:173]
	v_add_f64 v[180:181], v[96:97], v[170:171]
	v_fma_f64 v[170:171], v[106:107], s[12:13], v[102:103]
	v_fma_f64 v[102:103], v[106:107], s[16:17], v[102:103]
	v_add_f64 v[164:165], v[164:165], v[166:167]
	v_add_f64 v[96:97], v[98:99], v[178:179]
	;; [unrolled: 1-line block ×3, first 2 shown]
	v_fma_f64 v[168:169], v[100:101], s[2:3], v[174:175]
	v_fma_f64 v[172:173], v[100:101], s[4:5], v[188:189]
	;; [unrolled: 1-line block ×4, first 2 shown]
	v_add_f64 v[98:99], v[180:181], v[176:177]
	v_fma_f64 v[100:101], v[106:107], s[0:1], v[168:169]
	v_fma_f64 v[104:105], v[106:107], s[0:1], v[172:173]
	;; [unrolled: 1-line block ×4, first 2 shown]
	buffer_load_dword v164, off, s[40:43], 0 offset:900 ; 4-byte Folded Reload
	v_add_f64 v[166:167], v[186:187], v[148:149]
	s_waitcnt vmcnt(0)
	ds_write_b128 v164, v[96:99]
	ds_write_b128 v164, v[100:103] offset:176
	ds_write_b128 v164, v[88:91] offset:352
	;; [unrolled: 1-line block ×4, first 2 shown]
	v_add_f64 v[88:89], v[158:159], -v[152:153]
	v_add_f64 v[90:91], v[156:157], -v[162:163]
	v_add_f64 v[100:101], v[150:151], -v[154:155]
	v_add_f64 v[98:99], v[148:149], -v[160:161]
	v_add_f64 v[104:105], v[158:159], -v[156:157]
	v_add_f64 v[106:107], v[152:153], -v[162:163]
	v_add_f64 v[164:165], v[184:185], v[152:153]
	v_add_f64 v[92:93], v[88:89], v[90:91]
	v_add_f64 v[88:89], v[150:151], -v[148:149]
	v_add_f64 v[90:91], v[154:155], -v[160:161]
	v_add_f64 v[164:165], v[164:165], v[158:159]
	v_add_f64 v[94:95], v[88:89], v[90:91]
	;; [unrolled: 1-line block ×4, first 2 shown]
	v_add_f64 v[152:153], v[152:153], -v[158:159]
	v_add_f64 v[148:149], v[148:149], -v[150:151]
	v_fma_f64 v[96:97], v[88:89], -0.5, v[184:185]
	v_fma_f64 v[102:103], v[90:91], -0.5, v[186:187]
	v_fma_f64 v[88:89], v[100:101], s[12:13], v[96:97]
	v_fma_f64 v[96:97], v[100:101], s[16:17], v[96:97]
	;; [unrolled: 1-line block ×10, first 2 shown]
	v_add_f64 v[96:97], v[158:159], v[156:157]
	v_fma_f64 v[90:91], v[94:95], s[0:1], v[90:91]
	v_fma_f64 v[94:95], v[94:95], s[0:1], v[102:103]
	v_add_f64 v[102:103], v[150:151], v[154:155]
	v_fma_f64 v[96:97], v[96:97], -0.5, v[184:185]
	v_fma_f64 v[102:103], v[102:103], -0.5, v[186:187]
	v_fma_f64 v[158:159], v[98:99], s[16:17], v[96:97]
	v_fma_f64 v[168:169], v[98:99], s[12:13], v[96:97]
	v_add_f64 v[96:97], v[166:167], v[150:151]
	v_add_f64 v[98:99], v[164:165], v[156:157]
	v_add_f64 v[156:157], v[162:163], -v[156:157]
	v_add_f64 v[150:151], v[160:161], -v[154:155]
	v_add_f64 v[164:165], v[96:97], v[154:155]
	v_fma_f64 v[154:155], v[106:107], s[12:13], v[102:103]
	v_fma_f64 v[102:103], v[106:107], s[16:17], v[102:103]
	v_add_f64 v[106:107], v[152:153], v[156:157]
	v_fma_f64 v[152:153], v[100:101], s[2:3], v[158:159]
	v_fma_f64 v[156:157], v[100:101], s[4:5], v[168:169]
	v_add_f64 v[148:149], v[148:149], v[150:151]
	v_add_f64 v[96:97], v[98:99], v[162:163]
	;; [unrolled: 1-line block ×3, first 2 shown]
	v_fma_f64 v[150:151], v[104:105], s[4:5], v[154:155]
	v_fma_f64 v[154:155], v[104:105], s[2:3], v[102:103]
	;; [unrolled: 1-line block ×6, first 2 shown]
	buffer_load_dword v148, off, s[40:43], 0 offset:892 ; 4-byte Folded Reload
	s_waitcnt vmcnt(0)
	ds_write_b128 v148, v[96:99]
	ds_write_b128 v148, v[100:103] offset:176
	ds_write_b128 v148, v[88:91] offset:352
	;; [unrolled: 1-line block ×4, first 2 shown]
	v_add_f64 v[88:89], v[142:143], -v[136:137]
	v_add_f64 v[90:91], v[140:141], -v[146:147]
	;; [unrolled: 1-line block ×6, first 2 shown]
	v_add_f64 v[92:93], v[88:89], v[90:91]
	v_add_f64 v[88:89], v[134:135], -v[132:133]
	v_add_f64 v[90:91], v[138:139], -v[144:145]
	v_add_f64 v[94:95], v[88:89], v[90:91]
	v_add_f64 v[88:89], v[136:137], v[146:147]
	;; [unrolled: 1-line block ×3, first 2 shown]
	v_fma_f64 v[96:97], v[88:89], -0.5, v[112:113]
	v_fma_f64 v[102:103], v[90:91], -0.5, v[114:115]
	v_fma_f64 v[88:89], v[100:101], s[12:13], v[96:97]
	v_fma_f64 v[90:91], v[104:105], s[16:17], v[102:103]
	;; [unrolled: 1-line block ×12, first 2 shown]
	v_add_f64 v[96:97], v[142:143], v[140:141]
	v_add_f64 v[102:103], v[134:135], v[138:139]
	v_fma_f64 v[96:97], v[96:97], -0.5, v[112:113]
	v_fma_f64 v[102:103], v[102:103], -0.5, v[114:115]
	v_add_f64 v[112:113], v[112:113], v[136:137]
	v_add_f64 v[114:115], v[114:115], v[132:133]
	v_add_f64 v[136:137], v[136:137], -v[142:143]
	v_fma_f64 v[148:149], v[98:99], s[12:13], v[96:97]
	v_add_f64 v[112:113], v[112:113], v[142:143]
	v_fma_f64 v[142:143], v[98:99], s[16:17], v[96:97]
	v_add_f64 v[96:97], v[114:115], v[134:135]
	v_add_f64 v[114:115], v[146:147], -v[140:141]
	v_add_f64 v[98:99], v[112:113], v[140:141]
	v_add_f64 v[112:113], v[96:97], v[138:139]
	;; [unrolled: 1-line block ×4, first 2 shown]
	v_add_f64 v[112:113], v[132:133], -v[134:135]
	v_add_f64 v[132:133], v[144:145], -v[138:139]
	v_fma_f64 v[134:135], v[106:107], s[12:13], v[102:103]
	v_fma_f64 v[102:103], v[106:107], s[16:17], v[102:103]
	v_add_f64 v[106:107], v[136:137], v[114:115]
	v_fma_f64 v[114:115], v[100:101], s[2:3], v[142:143]
	v_fma_f64 v[136:137], v[100:101], s[4:5], v[148:149]
	v_add_f64 v[112:113], v[112:113], v[132:133]
	v_fma_f64 v[132:133], v[104:105], s[4:5], v[134:135]
	v_fma_f64 v[134:135], v[104:105], s[2:3], v[102:103]
	;; [unrolled: 1-line block ×6, first 2 shown]
	buffer_load_dword v112, off, s[40:43], 0 offset:888 ; 4-byte Folded Reload
	s_waitcnt vmcnt(0)
	ds_write_b128 v112, v[96:99]
	ds_write_b128 v112, v[100:103] offset:176
	ds_write_b128 v112, v[88:91] offset:352
	;; [unrolled: 1-line block ×4, first 2 shown]
	v_add_f64 v[88:89], v[126:127], -v[120:121]
	v_add_f64 v[90:91], v[124:125], -v[130:131]
	;; [unrolled: 1-line block ×7, first 2 shown]
	v_add_f64 v[92:93], v[88:89], v[90:91]
	v_add_f64 v[88:89], v[118:119], -v[116:117]
	v_add_f64 v[90:91], v[122:123], -v[128:129]
	v_add_f64 v[94:95], v[88:89], v[90:91]
	v_add_f64 v[88:89], v[120:121], v[130:131]
	;; [unrolled: 1-line block ×3, first 2 shown]
	v_fma_f64 v[96:97], v[88:89], -0.5, v[108:109]
	v_fma_f64 v[102:103], v[90:91], -0.5, v[110:111]
	v_fma_f64 v[88:89], v[100:101], s[12:13], v[96:97]
	v_fma_f64 v[90:91], v[104:105], s[16:17], v[102:103]
	;; [unrolled: 1-line block ×12, first 2 shown]
	v_add_f64 v[96:97], v[126:127], v[124:125]
	v_add_f64 v[102:103], v[118:119], v[122:123]
	v_fma_f64 v[96:97], v[96:97], -0.5, v[108:109]
	v_fma_f64 v[102:103], v[102:103], -0.5, v[110:111]
	v_add_f64 v[108:109], v[108:109], v[120:121]
	v_add_f64 v[110:111], v[110:111], v[116:117]
	v_fma_f64 v[114:115], v[98:99], s[16:17], v[96:97]
	v_fma_f64 v[120:121], v[98:99], s[12:13], v[96:97]
	v_add_f64 v[108:109], v[108:109], v[126:127]
	v_add_f64 v[96:97], v[110:111], v[118:119]
	v_add_f64 v[110:111], v[130:131], -v[124:125]
	v_add_f64 v[98:99], v[108:109], v[124:125]
	v_add_f64 v[108:109], v[96:97], v[122:123]
	;; [unrolled: 1-line block ×4, first 2 shown]
	v_add_f64 v[108:109], v[116:117], -v[118:119]
	v_add_f64 v[116:117], v[128:129], -v[122:123]
	v_fma_f64 v[118:119], v[106:107], s[12:13], v[102:103]
	v_fma_f64 v[102:103], v[106:107], s[16:17], v[102:103]
	v_add_f64 v[106:107], v[112:113], v[110:111]
	v_fma_f64 v[110:111], v[100:101], s[2:3], v[114:115]
	v_fma_f64 v[112:113], v[100:101], s[4:5], v[120:121]
	v_add_f64 v[108:109], v[108:109], v[116:117]
	v_fma_f64 v[114:115], v[104:105], s[4:5], v[118:119]
	v_fma_f64 v[116:117], v[104:105], s[2:3], v[102:103]
	;; [unrolled: 1-line block ×6, first 2 shown]
	buffer_load_dword v108, off, s[40:43], 0 offset:896 ; 4-byte Folded Reload
	s_waitcnt vmcnt(0)
	ds_write_b128 v108, v[96:99]
	ds_write_b128 v108, v[100:103] offset:176
	ds_write_b128 v108, v[88:91] offset:352
	;; [unrolled: 1-line block ×4, first 2 shown]
	s_waitcnt lgkmcnt(0)
	s_barrier
	buffer_gl0_inv
	ds_read_b128 v[88:91], v194 offset:4400
	s_waitcnt lgkmcnt(0)
	v_mul_f64 v[92:93], v[214:215], v[90:91]
	v_fma_f64 v[92:93], v[212:213], v[88:89], v[92:93]
	v_mul_f64 v[88:89], v[214:215], v[88:89]
	v_fma_f64 v[94:95], v[212:213], v[90:91], -v[88:89]
	ds_read_b128 v[88:91], v194 offset:5280
	s_waitcnt lgkmcnt(0)
	v_mul_f64 v[96:97], v[214:215], v[90:91]
	v_fma_f64 v[112:113], v[212:213], v[88:89], v[96:97]
	v_mul_f64 v[88:89], v[214:215], v[88:89]
	v_fma_f64 v[114:115], v[212:213], v[90:91], -v[88:89]
	;; [unrolled: 6-line block ×4, first 2 shown]
	ds_read_b128 v[88:91], v194 offset:13200
	s_waitcnt lgkmcnt(0)
	v_mul_f64 v[98:99], v[210:211], v[90:91]
	v_fma_f64 v[98:99], v[208:209], v[88:89], v[98:99]
	v_mul_f64 v[88:89], v[210:211], v[88:89]
	v_add_f64 v[150:151], v[96:97], -v[98:99]
	v_fma_f64 v[102:103], v[208:209], v[90:91], -v[88:89]
	ds_read_b128 v[88:91], v194 offset:14080
	s_waitcnt lgkmcnt(0)
	v_mul_f64 v[104:105], v[210:211], v[90:91]
	v_fma_f64 v[118:119], v[208:209], v[88:89], v[104:105]
	v_mul_f64 v[88:89], v[210:211], v[88:89]
	v_add_f64 v[186:187], v[116:117], -v[118:119]
	v_fma_f64 v[122:123], v[208:209], v[90:91], -v[88:89]
	;; [unrolled: 7-line block ×3, first 2 shown]
	ds_read_b128 v[88:91], v194 offset:18480
	s_waitcnt lgkmcnt(0)
	v_mul_f64 v[108:109], v[202:203], v[90:91]
	v_add_f64 v[110:111], v[94:95], -v[106:107]
	v_fma_f64 v[124:125], v[200:201], v[88:89], v[108:109]
	v_mul_f64 v[88:89], v[202:203], v[88:89]
	v_fma_f64 v[126:127], v[200:201], v[90:91], -v[88:89]
	ds_read_b128 v[88:91], v194 offset:6160
	s_clause 0x3
	buffer_load_dword v128, off, s[40:43], 0 offset:904
	buffer_load_dword v129, off, s[40:43], 0 offset:908
	buffer_load_dword v130, off, s[40:43], 0 offset:912
	buffer_load_dword v131, off, s[40:43], 0 offset:916
	s_waitcnt vmcnt(0) lgkmcnt(0)
	v_mul_f64 v[108:109], v[130:131], v[90:91]
	v_fma_f64 v[132:133], v[128:129], v[88:89], v[108:109]
	v_mul_f64 v[88:89], v[130:131], v[88:89]
	v_fma_f64 v[134:135], v[128:129], v[90:91], -v[88:89]
	ds_read_b128 v[88:91], v194 offset:10560
	s_clause 0x3
	buffer_load_dword v128, off, s[40:43], 0 offset:920
	buffer_load_dword v129, off, s[40:43], 0 offset:924
	buffer_load_dword v130, off, s[40:43], 0 offset:928
	buffer_load_dword v131, off, s[40:43], 0 offset:932
	s_waitcnt vmcnt(0) lgkmcnt(0)
	v_mul_f64 v[108:109], v[130:131], v[90:91]
	;; [unrolled: 11-line block ×3, first 2 shown]
	v_fma_f64 v[138:139], v[128:129], v[88:89], v[108:109]
	v_mul_f64 v[88:89], v[130:131], v[88:89]
	v_add_f64 v[190:191], v[136:137], -v[138:139]
	v_fma_f64 v[142:143], v[128:129], v[90:91], -v[88:89]
	ds_read_b128 v[88:91], v194 offset:19360
	s_clause 0x3
	buffer_load_dword v128, off, s[40:43], 0 offset:952
	buffer_load_dword v129, off, s[40:43], 0 offset:956
	buffer_load_dword v130, off, s[40:43], 0 offset:960
	buffer_load_dword v131, off, s[40:43], 0 offset:964
	s_waitcnt vmcnt(0) lgkmcnt(0)
	v_mul_f64 v[108:109], v[130:131], v[90:91]
	v_fma_f64 v[144:145], v[128:129], v[88:89], v[108:109]
	v_mul_f64 v[88:89], v[130:131], v[88:89]
	v_fma_f64 v[146:147], v[128:129], v[90:91], -v[88:89]
	ds_read_b128 v[88:91], v194 offset:7040
	s_clause 0x3
	buffer_load_dword v128, off, s[40:43], 0 offset:968
	buffer_load_dword v129, off, s[40:43], 0 offset:972
	buffer_load_dword v130, off, s[40:43], 0 offset:976
	buffer_load_dword v131, off, s[40:43], 0 offset:980
	s_waitcnt vmcnt(0) lgkmcnt(0)
	v_mul_f64 v[108:109], v[130:131], v[90:91]
	v_fma_f64 v[152:153], v[128:129], v[88:89], v[108:109]
	v_mul_f64 v[88:89], v[130:131], v[88:89]
	;; [unrolled: 11-line block ×3, first 2 shown]
	v_add_f64 v[199:200], v[154:155], -v[152:153]
	v_fma_f64 v[158:159], v[128:129], v[90:91], -v[88:89]
	ds_read_b128 v[88:91], v194 offset:15840
	s_clause 0x3
	buffer_load_dword v128, off, s[40:43], 0 offset:1000
	buffer_load_dword v129, off, s[40:43], 0 offset:1004
	;; [unrolled: 1-line block ×4, first 2 shown]
	s_waitcnt vmcnt(0) lgkmcnt(0)
	v_mul_f64 v[108:109], v[130:131], v[90:91]
	v_fma_f64 v[176:177], v[128:129], v[88:89], v[108:109]
	v_mul_f64 v[88:89], v[130:131], v[88:89]
	v_add_f64 v[197:198], v[154:155], -v[176:177]
	v_fma_f64 v[178:179], v[128:129], v[90:91], -v[88:89]
	ds_read_b128 v[88:91], v194 offset:20240
	s_clause 0x3
	buffer_load_dword v128, off, s[40:43], 0 offset:1016
	buffer_load_dword v129, off, s[40:43], 0 offset:1020
	;; [unrolled: 1-line block ×4, first 2 shown]
	s_waitcnt vmcnt(0) lgkmcnt(0)
	v_mul_f64 v[108:109], v[130:131], v[90:91]
	v_fma_f64 v[180:181], v[128:129], v[88:89], v[108:109]
	v_mul_f64 v[88:89], v[130:131], v[88:89]
	v_fma_f64 v[182:183], v[128:129], v[90:91], -v[88:89]
	ds_read_b128 v[88:91], v194 offset:7920
	s_clause 0x3
	buffer_load_dword v128, off, s[40:43], 0 offset:1032
	buffer_load_dword v129, off, s[40:43], 0 offset:1036
	;; [unrolled: 1-line block ×4, first 2 shown]
	s_waitcnt vmcnt(0) lgkmcnt(0)
	v_mul_f64 v[108:109], v[130:131], v[90:91]
	v_fma_f64 v[164:165], v[128:129], v[88:89], v[108:109]
	v_mul_f64 v[88:89], v[130:131], v[88:89]
	v_fma_f64 v[160:161], v[128:129], v[90:91], -v[88:89]
	ds_read_b128 v[88:91], v194 offset:12320
	v_add_f64 v[128:129], v[100:101], -v[102:103]
	s_waitcnt lgkmcnt(0)
	v_mul_f64 v[108:109], v[254:255], v[90:91]
	v_fma_f64 v[170:171], v[252:253], v[88:89], v[108:109]
	v_mul_f64 v[88:89], v[254:255], v[88:89]
	v_fma_f64 v[162:163], v[252:253], v[90:91], -v[88:89]
	ds_read_b128 v[88:91], v194 offset:16720
	s_waitcnt lgkmcnt(0)
	v_mul_f64 v[108:109], v[2:3], v[90:91]
	v_mul_f64 v[2:3], v[2:3], v[88:89]
	v_fma_f64 v[168:169], v[0:1], v[88:89], v[108:109]
	v_fma_f64 v[166:167], v[0:1], v[90:91], -v[2:3]
	ds_read_b128 v[0:3], v194 offset:21120
	s_waitcnt lgkmcnt(0)
	v_mul_f64 v[88:89], v[6:7], v[2:3]
	v_add_f64 v[203:204], v[170:171], -v[168:169]
	v_fma_f64 v[174:175], v[4:5], v[0:1], v[88:89]
	v_mul_f64 v[0:1], v[6:7], v[0:1]
	v_add_f64 v[6:7], v[100:101], v[102:103]
	ds_read_b128 v[88:91], v194
	v_fma_f64 v[172:173], v[4:5], v[2:3], -v[0:1]
	v_add_f64 v[0:1], v[92:93], -v[96:97]
	v_add_f64 v[2:3], v[104:105], -v[98:99]
	;; [unrolled: 1-line block ×3, first 2 shown]
	s_waitcnt lgkmcnt(0)
	v_fma_f64 v[130:131], v[6:7], -0.5, v[90:91]
	v_add_f64 v[0:1], v[0:1], v[2:3]
	v_add_f64 v[2:3], v[94:95], -v[100:101]
	v_fma_f64 v[6:7], v[148:149], s[12:13], v[130:131]
	v_fma_f64 v[130:131], v[148:149], s[16:17], v[130:131]
	v_add_f64 v[2:3], v[2:3], v[4:5]
	v_add_f64 v[4:5], v[96:97], v[98:99]
	v_fma_f64 v[6:7], v[150:151], s[4:5], v[6:7]
	v_fma_f64 v[130:131], v[150:151], s[2:3], v[130:131]
	v_fma_f64 v[108:109], v[4:5], -0.5, v[88:89]
	v_fma_f64 v[6:7], v[2:3], s[0:1], v[6:7]
	v_fma_f64 v[2:3], v[2:3], s[0:1], v[130:131]
	v_add_f64 v[130:131], v[94:95], v[106:107]
	v_fma_f64 v[4:5], v[110:111], s[16:17], v[108:109]
	v_fma_f64 v[108:109], v[110:111], s[12:13], v[108:109]
	v_fma_f64 v[130:131], v[130:131], -0.5, v[90:91]
	v_add_f64 v[90:91], v[90:91], v[94:95]
	v_fma_f64 v[4:5], v[128:129], s[2:3], v[4:5]
	v_fma_f64 v[108:109], v[128:129], s[4:5], v[108:109]
	v_add_f64 v[90:91], v[90:91], v[100:101]
	v_fma_f64 v[4:5], v[0:1], s[0:1], v[4:5]
	v_fma_f64 v[0:1], v[0:1], s[0:1], v[108:109]
	v_add_f64 v[108:109], v[92:93], v[104:105]
	v_add_f64 v[90:91], v[90:91], v[102:103]
	v_fma_f64 v[108:109], v[108:109], -0.5, v[88:89]
	v_add_f64 v[88:89], v[88:89], v[92:93]
	v_add_f64 v[92:93], v[96:97], -v[92:93]
	v_fma_f64 v[184:185], v[128:129], s[12:13], v[108:109]
	v_add_f64 v[88:89], v[88:89], v[96:97]
	v_fma_f64 v[108:109], v[128:129], s[16:17], v[108:109]
	v_add_f64 v[128:129], v[98:99], -v[104:105]
	v_add_f64 v[88:89], v[88:89], v[98:99]
	v_add_f64 v[98:99], v[90:91], v[106:107]
	v_add_f64 v[90:91], v[102:103], -v[106:107]
	v_add_f64 v[92:93], v[92:93], v[128:129]
	v_fma_f64 v[102:103], v[110:111], s[2:3], v[184:185]
	v_add_f64 v[106:107], v[120:121], v[122:123]
	v_add_f64 v[184:185], v[112:113], -v[124:125]
	v_add_f64 v[96:97], v[88:89], v[104:105]
	v_add_f64 v[88:89], v[100:101], -v[94:95]
	v_fma_f64 v[94:95], v[150:151], s[16:17], v[130:131]
	v_fma_f64 v[100:101], v[150:151], s[12:13], v[130:131]
	v_fma_f64 v[104:105], v[110:111], s[4:5], v[108:109]
	ds_read_b128 v[108:111], v194 offset:880
	v_add_f64 v[130:131], v[114:115], -v[126:127]
	v_add_f64 v[88:89], v[88:89], v[90:91]
	v_fma_f64 v[90:91], v[148:149], s[4:5], v[94:95]
	v_fma_f64 v[94:95], v[148:149], s[2:3], v[100:101]
	v_fma_f64 v[100:101], v[92:93], s[0:1], v[102:103]
	v_fma_f64 v[92:93], v[92:93], s[0:1], v[104:105]
	v_add_f64 v[104:105], v[126:127], -v[122:123]
	s_waitcnt lgkmcnt(0)
	v_fma_f64 v[150:151], v[106:107], -0.5, v[110:111]
	v_add_f64 v[148:149], v[120:121], -v[122:123]
	v_fma_f64 v[102:103], v[88:89], s[0:1], v[90:91]
	v_fma_f64 v[94:95], v[88:89], s[0:1], v[94:95]
	v_add_f64 v[88:89], v[112:113], -v[116:117]
	v_add_f64 v[90:91], v[124:125], -v[118:119]
	v_fma_f64 v[106:107], v[184:185], s[12:13], v[150:151]
	v_fma_f64 v[150:151], v[184:185], s[16:17], v[150:151]
	v_add_f64 v[88:89], v[88:89], v[90:91]
	v_add_f64 v[90:91], v[114:115], -v[120:121]
	v_fma_f64 v[106:107], v[186:187], s[4:5], v[106:107]
	v_fma_f64 v[150:151], v[186:187], s[2:3], v[150:151]
	v_add_f64 v[90:91], v[90:91], v[104:105]
	v_add_f64 v[104:105], v[116:117], v[118:119]
	v_fma_f64 v[106:107], v[90:91], s[0:1], v[106:107]
	v_fma_f64 v[128:129], v[104:105], -0.5, v[108:109]
	v_fma_f64 v[90:91], v[90:91], s[0:1], v[150:151]
	v_add_f64 v[150:151], v[114:115], v[126:127]
	v_fma_f64 v[104:105], v[130:131], s[16:17], v[128:129]
	v_fma_f64 v[128:129], v[130:131], s[12:13], v[128:129]
	v_fma_f64 v[150:151], v[150:151], -0.5, v[110:111]
	v_add_f64 v[110:111], v[110:111], v[114:115]
	v_fma_f64 v[104:105], v[148:149], s[2:3], v[104:105]
	v_fma_f64 v[128:129], v[148:149], s[4:5], v[128:129]
	v_add_f64 v[110:111], v[110:111], v[120:121]
	v_fma_f64 v[104:105], v[88:89], s[0:1], v[104:105]
	v_fma_f64 v[88:89], v[88:89], s[0:1], v[128:129]
	v_add_f64 v[128:129], v[112:113], v[124:125]
	v_add_f64 v[110:111], v[110:111], v[122:123]
	v_fma_f64 v[128:129], v[128:129], -0.5, v[108:109]
	v_add_f64 v[108:109], v[108:109], v[112:113]
	v_add_f64 v[112:113], v[116:117], -v[112:113]
	v_fma_f64 v[188:189], v[148:149], s[12:13], v[128:129]
	v_add_f64 v[108:109], v[108:109], v[116:117]
	v_fma_f64 v[128:129], v[148:149], s[16:17], v[128:129]
	v_add_f64 v[148:149], v[118:119], -v[124:125]
	v_add_f64 v[108:109], v[108:109], v[118:119]
	v_add_f64 v[118:119], v[110:111], v[126:127]
	v_add_f64 v[110:111], v[122:123], -v[126:127]
	v_add_f64 v[112:113], v[112:113], v[148:149]
	v_fma_f64 v[122:123], v[130:131], s[2:3], v[188:189]
	v_add_f64 v[126:127], v[140:141], v[142:143]
	v_add_f64 v[188:189], v[132:133], -v[144:145]
	v_add_f64 v[116:117], v[108:109], v[124:125]
	v_add_f64 v[108:109], v[120:121], -v[114:115]
	v_fma_f64 v[114:115], v[186:187], s[16:17], v[150:151]
	v_fma_f64 v[120:121], v[186:187], s[12:13], v[150:151]
	v_fma_f64 v[124:125], v[130:131], s[4:5], v[128:129]
	ds_read_b128 v[128:131], v194 offset:1760
	v_add_f64 v[150:151], v[134:135], -v[146:147]
	v_add_f64 v[108:109], v[108:109], v[110:111]
	v_fma_f64 v[110:111], v[184:185], s[4:5], v[114:115]
	v_fma_f64 v[114:115], v[184:185], s[2:3], v[120:121]
	v_fma_f64 v[120:121], v[112:113], s[0:1], v[122:123]
	v_fma_f64 v[112:113], v[112:113], s[0:1], v[124:125]
	v_add_f64 v[124:125], v[146:147], -v[142:143]
	s_waitcnt lgkmcnt(0)
	v_fma_f64 v[186:187], v[126:127], -0.5, v[130:131]
	v_add_f64 v[184:185], v[140:141], -v[142:143]
	v_fma_f64 v[122:123], v[108:109], s[0:1], v[110:111]
	v_fma_f64 v[114:115], v[108:109], s[0:1], v[114:115]
	v_add_f64 v[108:109], v[132:133], -v[136:137]
	v_add_f64 v[110:111], v[144:145], -v[138:139]
	v_fma_f64 v[126:127], v[188:189], s[12:13], v[186:187]
	v_fma_f64 v[186:187], v[188:189], s[16:17], v[186:187]
	v_add_f64 v[108:109], v[108:109], v[110:111]
	v_add_f64 v[110:111], v[134:135], -v[140:141]
	v_fma_f64 v[126:127], v[190:191], s[4:5], v[126:127]
	v_fma_f64 v[186:187], v[190:191], s[2:3], v[186:187]
	v_add_f64 v[110:111], v[110:111], v[124:125]
	v_add_f64 v[124:125], v[136:137], v[138:139]
	v_fma_f64 v[126:127], v[110:111], s[0:1], v[126:127]
	v_fma_f64 v[148:149], v[124:125], -0.5, v[128:129]
	;; [unrolled: 57-line block ×3, first 2 shown]
	v_fma_f64 v[130:131], v[130:131], s[0:1], v[190:191]
	v_add_f64 v[190:191], v[156:157], v[182:183]
	v_fma_f64 v[144:145], v[186:187], s[16:17], v[184:185]
	v_fma_f64 v[184:185], v[186:187], s[12:13], v[184:185]
	v_fma_f64 v[190:191], v[190:191], -0.5, v[150:151]
	v_add_f64 v[150:151], v[150:151], v[156:157]
	v_fma_f64 v[144:145], v[188:189], s[2:3], v[144:145]
	v_fma_f64 v[184:185], v[188:189], s[4:5], v[184:185]
	v_add_f64 v[150:151], v[150:151], v[158:159]
	v_fma_f64 v[144:145], v[128:129], s[0:1], v[144:145]
	v_fma_f64 v[128:129], v[128:129], s[0:1], v[184:185]
	v_add_f64 v[184:185], v[152:153], v[180:181]
	v_add_f64 v[150:151], v[150:151], v[178:179]
	v_fma_f64 v[184:185], v[184:185], -0.5, v[148:149]
	v_add_f64 v[148:149], v[148:149], v[152:153]
	v_fma_f64 v[201:202], v[188:189], s[12:13], v[184:185]
	v_add_f64 v[148:149], v[148:149], v[154:155]
	v_add_f64 v[154:155], v[150:151], v[182:183]
	v_add_f64 v[150:151], v[178:179], -v[182:183]
	v_fma_f64 v[184:185], v[188:189], s[16:17], v[184:185]
	v_fma_f64 v[178:179], v[186:187], s[2:3], v[201:202]
	v_add_f64 v[148:149], v[148:149], v[176:177]
	v_add_f64 v[176:177], v[176:177], -v[180:181]
	v_add_f64 v[201:202], v[164:165], -v[174:175]
	v_add_f64 v[152:153], v[148:149], v[180:181]
	v_add_f64 v[148:149], v[158:159], -v[156:157]
	v_fma_f64 v[156:157], v[197:198], s[16:17], v[190:191]
	v_fma_f64 v[158:159], v[197:198], s[12:13], v[190:191]
	;; [unrolled: 1-line block ×3, first 2 shown]
	v_add_f64 v[176:177], v[199:200], v[176:177]
	v_add_f64 v[186:187], v[160:161], -v[172:173]
	v_add_f64 v[190:191], v[162:163], -v[166:167]
	v_add_f64 v[150:151], v[148:149], v[150:151]
	v_fma_f64 v[148:149], v[195:196], s[4:5], v[156:157]
	v_fma_f64 v[182:183], v[195:196], s[2:3], v[158:159]
	v_add_f64 v[195:196], v[162:163], v[166:167]
	v_fma_f64 v[156:157], v[176:177], s[0:1], v[178:179]
	v_add_f64 v[178:179], v[174:175], -v[168:169]
	v_fma_f64 v[158:159], v[150:151], s[0:1], v[148:149]
	v_fma_f64 v[150:151], v[150:151], s[0:1], v[182:183]
	ds_read_b128 v[182:185], v194 offset:3520
	s_waitcnt lgkmcnt(0)
	s_barrier
	buffer_gl0_inv
	ds_write_b128 v194, v[96:99]
	ds_write_b128 v194, v[4:7] offset:880
	ds_write_b128 v194, v[100:103] offset:1760
	;; [unrolled: 1-line block ×14, first 2 shown]
	buffer_load_dword v0, off, s[40:43], 0 offset:1052 ; 4-byte Folded Reload
	v_fma_f64 v[148:149], v[176:177], s[0:1], v[180:181]
	v_add_f64 v[176:177], v[164:165], -v[170:171]
	v_add_f64 v[180:181], v[172:173], -v[166:167]
	s_waitcnt vmcnt(0)
	ds_write_b128 v0, v[152:155] offset:13200
	ds_write_b128 v0, v[144:147] offset:14080
	;; [unrolled: 1-line block ×5, first 2 shown]
	buffer_load_dword v0, off, s[40:43], 0 offset:1048 ; 4-byte Folded Reload
	v_add_f64 v[176:177], v[176:177], v[178:179]
	v_add_f64 v[178:179], v[160:161], -v[162:163]
	v_fma_f64 v[199:200], v[195:196], -0.5, v[184:185]
	v_add_f64 v[178:179], v[178:179], v[180:181]
	v_add_f64 v[180:181], v[170:171], v[168:169]
	v_fma_f64 v[195:196], v[201:202], s[12:13], v[199:200]
	v_fma_f64 v[180:181], v[180:181], -0.5, v[182:183]
	v_fma_f64 v[197:198], v[203:204], s[4:5], v[195:196]
	v_fma_f64 v[188:189], v[186:187], s[16:17], v[180:181]
	;; [unrolled: 1-line block ×9, first 2 shown]
	v_add_f64 v[180:181], v[164:165], v[174:175]
	v_fma_f64 v[188:189], v[203:204], s[2:3], v[188:189]
	v_fma_f64 v[180:181], v[180:181], -0.5, v[182:183]
	v_add_f64 v[182:183], v[182:183], v[164:165]
	v_add_f64 v[164:165], v[170:171], -v[164:165]
	v_fma_f64 v[178:179], v[178:179], s[0:1], v[188:189]
	v_add_f64 v[188:189], v[160:161], v[172:173]
	v_fma_f64 v[199:200], v[190:191], s[12:13], v[180:181]
	v_add_f64 v[182:183], v[182:183], v[170:171]
	v_fma_f64 v[180:181], v[190:191], s[16:17], v[180:181]
	v_fma_f64 v[188:189], v[188:189], -0.5, v[184:185]
	v_add_f64 v[184:185], v[184:185], v[160:161]
	v_add_f64 v[182:183], v[182:183], v[168:169]
	v_add_f64 v[160:161], v[162:163], -v[160:161]
	v_fma_f64 v[180:181], v[186:187], s[4:5], v[180:181]
	v_add_f64 v[170:171], v[184:185], v[162:163]
	v_add_f64 v[184:185], v[168:169], -v[174:175]
	v_add_f64 v[162:163], v[166:167], -v[172:173]
	v_add_f64 v[168:169], v[182:183], v[174:175]
	v_fma_f64 v[174:175], v[186:187], s[2:3], v[199:200]
	v_add_f64 v[170:171], v[170:171], v[166:167]
	v_fma_f64 v[166:167], v[203:204], s[16:17], v[188:189]
	v_add_f64 v[164:165], v[164:165], v[184:185]
	v_add_f64 v[182:183], v[160:161], v[162:163]
	;; [unrolled: 1-line block ×3, first 2 shown]
	v_fma_f64 v[172:173], v[203:204], s[12:13], v[188:189]
	v_fma_f64 v[162:163], v[201:202], s[4:5], v[166:167]
	;; [unrolled: 1-line block ×7, first 2 shown]
	s_waitcnt vmcnt(0)
	ds_write_b128 v0, v[168:171] offset:17600
	ds_write_b128 v0, v[195:198] offset:18480
	;; [unrolled: 1-line block ×5, first 2 shown]
	s_waitcnt lgkmcnt(0)
	s_barrier
	buffer_gl0_inv
	ds_read_b128 v[4:7], v194 offset:4400
	ds_read_b128 v[88:91], v194 offset:8800
	;; [unrolled: 1-line block ×11, first 2 shown]
	ds_read_b128 v[124:127], v194
	ds_read_b128 v[128:131], v194 offset:14960
	s_waitcnt lgkmcnt(12)
	v_mul_f64 v[132:133], v[10:11], v[6:7]
	v_mul_f64 v[10:11], v[10:11], v[4:5]
	s_waitcnt lgkmcnt(11)
	v_mul_f64 v[134:135], v[22:23], v[90:91]
	v_mul_f64 v[22:23], v[22:23], v[88:89]
	;; [unrolled: 3-line block ×6, first 2 shown]
	v_fma_f64 v[132:133], v[8:9], v[4:5], v[132:133]
	v_fma_f64 v[142:143], v[8:9], v[6:7], -v[10:11]
	ds_read_b128 v[4:7], v194 offset:10560
	ds_read_b128 v[8:11], v194 offset:19360
	v_fma_f64 v[22:23], v[20:21], v[90:91], -v[22:23]
	s_waitcnt lgkmcnt(8)
	v_mul_f64 v[90:91], v[62:63], v[110:111]
	v_mul_f64 v[62:63], v[62:63], v[108:109]
	v_fma_f64 v[92:93], v[16:17], v[92:93], v[136:137]
	v_fma_f64 v[94:95], v[16:17], v[94:95], -v[18:19]
	s_waitcnt lgkmcnt(5)
	v_mul_f64 v[16:17], v[66:67], v[118:119]
	v_fma_f64 v[88:89], v[20:21], v[88:89], v[134:135]
	v_mul_f64 v[66:67], v[66:67], v[116:117]
	s_waitcnt lgkmcnt(4)
	v_mul_f64 v[134:135], v[86:87], v[122:123]
	v_mul_f64 v[86:87], v[86:87], v[120:121]
	v_fma_f64 v[96:97], v[12:13], v[96:97], v[138:139]
	v_fma_f64 v[98:99], v[12:13], v[98:99], -v[14:15]
	ds_read_b128 v[12:15], v194 offset:11440
	ds_read_b128 v[18:21], v194 offset:7040
	v_fma_f64 v[100:101], v[40:41], v[100:101], v[140:141]
	s_waitcnt lgkmcnt(4)
	v_mul_f64 v[138:139], v[82:83], v[130:131]
	v_mul_f64 v[140:141], v[82:83], v[128:129]
	v_fma_f64 v[102:103], v[40:41], v[102:103], -v[42:43]
	ds_read_b128 v[40:43], v194 offset:20240
	s_waitcnt lgkmcnt(4)
	v_mul_f64 v[136:137], v[78:79], v[6:7]
	v_mul_f64 v[78:79], v[78:79], v[4:5]
	v_fma_f64 v[104:105], v[56:57], v[104:105], v[144:145]
	v_fma_f64 v[106:107], v[56:57], v[106:107], -v[58:59]
	s_waitcnt lgkmcnt(3)
	v_mul_f64 v[144:145], v[70:71], v[10:11]
	v_fma_f64 v[90:91], v[60:61], v[108:109], v[90:91]
	v_fma_f64 v[108:109], v[60:61], v[110:111], -v[62:63]
	ds_read_b128 v[56:59], v194 offset:15840
	ds_read_b128 v[60:63], v194 offset:7920
	v_fma_f64 v[110:111], v[64:65], v[116:117], v[16:17]
	v_mul_f64 v[16:17], v[70:71], v[8:9]
	v_fma_f64 v[116:117], v[64:65], v[118:119], -v[66:67]
	v_fma_f64 v[118:119], v[84:85], v[120:121], v[134:135]
	v_add_f64 v[70:71], v[88:89], v[92:93]
	v_fma_f64 v[86:87], v[84:85], v[122:123], -v[86:87]
	s_waitcnt lgkmcnt(3)
	v_mul_f64 v[120:121], v[74:75], v[20:21]
	v_mul_f64 v[122:123], v[74:75], v[18:19]
	v_mul_f64 v[134:135], v[54:55], v[14:15]
	v_fma_f64 v[128:129], v[80:81], v[128:129], v[138:139]
	v_fma_f64 v[80:81], v[80:81], v[130:131], -v[140:141]
	s_waitcnt lgkmcnt(2)
	v_mul_f64 v[138:139], v[50:51], v[42:43]
	ds_read_b128 v[64:67], v194 offset:880
	ds_read_b128 v[82:85], v194 offset:1760
	v_fma_f64 v[136:137], v[76:77], v[4:5], v[136:137]
	v_mul_f64 v[4:5], v[54:55], v[12:13]
	v_fma_f64 v[78:79], v[76:77], v[6:7], -v[78:79]
	v_add_f64 v[6:7], v[132:133], v[96:97]
	ds_read_b128 v[74:77], v194 offset:16720
	v_fma_f64 v[130:131], v[68:69], v[8:9], v[144:145]
	s_waitcnt lgkmcnt(4)
	v_mul_f64 v[54:55], v[46:47], v[58:59]
	v_mul_f64 v[46:47], v[46:47], v[56:57]
	;; [unrolled: 1-line block ×3, first 2 shown]
	v_add_f64 v[144:145], v[124:125], v[132:133]
	v_fma_f64 v[140:141], v[68:69], v[10:11], -v[16:17]
	s_waitcnt lgkmcnt(3)
	v_mul_f64 v[16:17], v[34:35], v[62:63]
	v_add_f64 v[148:149], v[142:143], -v[98:99]
	v_fma_f64 v[146:147], v[70:71], -0.5, v[124:125]
	v_mul_f64 v[34:35], v[34:35], v[60:61]
	v_fma_f64 v[18:19], v[72:73], v[18:19], v[120:121]
	v_fma_f64 v[8:9], v[72:73], v[20:21], -v[122:123]
	v_add_f64 v[72:73], v[22:23], v[94:95]
	v_fma_f64 v[20:21], v[52:53], v[12:13], v[134:135]
	v_mul_f64 v[120:121], v[38:39], v[114:115]
	v_mul_f64 v[38:39], v[38:39], v[112:113]
	v_add_f64 v[122:123], v[22:23], -v[94:95]
	ds_read_b128 v[68:71], v194 offset:21120
	v_fma_f64 v[12:13], v[52:53], v[14:15], -v[4:5]
	v_add_f64 v[14:15], v[142:143], v[98:99]
	s_waitcnt lgkmcnt(1)
	v_mul_f64 v[52:53], v[30:31], v[76:77]
	v_fma_f64 v[124:125], v[6:7], -0.5, v[124:125]
	v_fma_f64 v[6:7], v[48:49], v[40:41], v[138:139]
	v_add_f64 v[40:41], v[104:105], v[90:91]
	v_fma_f64 v[134:135], v[44:45], v[56:57], v[54:55]
	v_fma_f64 v[10:11], v[44:45], v[58:59], -v[46:47]
	v_fma_f64 v[4:5], v[48:49], v[42:43], -v[50:51]
	v_add_f64 v[42:43], v[144:145], v[88:89]
	v_fma_f64 v[138:139], v[32:33], v[60:61], v[16:17]
	v_mul_f64 v[16:17], v[30:31], v[74:75]
	v_fma_f64 v[44:45], v[148:149], s[16:17], v[146:147]
	v_add_f64 v[46:47], v[132:133], -v[88:89]
	v_add_f64 v[48:49], v[96:97], -v[92:93]
	v_add_f64 v[50:51], v[126:127], v[142:143]
	v_fma_f64 v[54:55], v[72:73], -0.5, v[126:127]
	v_add_f64 v[56:57], v[132:133], -v[96:97]
	v_fma_f64 v[144:145], v[32:33], v[62:63], -v[34:35]
	ds_read_b128 v[30:33], v194 offset:2640
	v_fma_f64 v[112:113], v[36:37], v[112:113], v[120:121]
	v_add_f64 v[34:35], v[88:89], -v[92:93]
	v_fma_f64 v[114:115], v[36:37], v[114:115], -v[38:39]
	v_fma_f64 v[58:59], v[14:15], -0.5, v[126:127]
	v_fma_f64 v[36:37], v[148:149], s[12:13], v[146:147]
	v_fma_f64 v[14:15], v[28:29], v[74:75], v[52:53]
	;; [unrolled: 1-line block ×3, first 2 shown]
	v_add_f64 v[52:53], v[88:89], -v[132:133]
	v_add_f64 v[60:61], v[92:93], -v[96:97]
	v_fma_f64 v[62:63], v[122:123], s[16:17], v[124:125]
	v_add_f64 v[72:73], v[64:65], v[100:101]
	v_fma_f64 v[40:41], v[40:41], -0.5, v[64:65]
	v_add_f64 v[74:75], v[102:103], -v[116:117]
	v_fma_f64 v[16:17], v[28:29], v[76:77], -v[16:17]
	s_waitcnt lgkmcnt(1)
	v_mul_f64 v[28:29], v[26:27], v[70:71]
	v_mul_f64 v[26:27], v[26:27], v[68:69]
	v_add_f64 v[42:43], v[42:43], v[92:93]
	v_fma_f64 v[44:45], v[122:123], s[2:3], v[44:45]
	v_add_f64 v[46:47], v[46:47], v[48:49]
	v_add_f64 v[48:49], v[50:51], v[22:23]
	v_fma_f64 v[50:51], v[56:57], s[12:13], v[54:55]
	v_add_f64 v[76:77], v[142:143], -v[22:23]
	v_add_f64 v[88:89], v[98:99], -v[94:95]
	;; [unrolled: 1-line block ×4, first 2 shown]
	v_fma_f64 v[92:93], v[34:35], s[16:17], v[58:59]
	v_fma_f64 v[58:59], v[34:35], s[12:13], v[58:59]
	;; [unrolled: 1-line block ×3, first 2 shown]
	v_add_f64 v[122:123], v[100:101], v[110:111]
	v_fma_f64 v[54:55], v[56:57], s[16:17], v[54:55]
	v_fma_f64 v[38:39], v[148:149], s[2:3], v[38:39]
	v_add_f64 v[52:53], v[52:53], v[60:61]
	v_fma_f64 v[60:61], v[148:149], s[4:5], v[62:63]
	v_add_f64 v[62:63], v[72:73], v[104:105]
	v_fma_f64 v[72:73], v[74:75], s[16:17], v[40:41]
	v_add_f64 v[124:125], v[106:107], -v[108:109]
	v_add_f64 v[126:127], v[100:101], -v[104:105]
	;; [unrolled: 1-line block ×3, first 2 shown]
	v_fma_f64 v[40:41], v[74:75], s[12:13], v[40:41]
	v_fma_f64 v[142:143], v[24:25], v[68:69], v[28:29]
	v_fma_f64 v[146:147], v[24:25], v[70:71], -v[26:27]
	v_add_f64 v[24:25], v[106:107], v[108:109]
	v_add_f64 v[68:69], v[102:103], v[116:117]
	;; [unrolled: 1-line block ×3, first 2 shown]
	v_fma_f64 v[48:49], v[34:35], s[4:5], v[50:51]
	v_add_f64 v[50:51], v[76:77], v[88:89]
	v_add_f64 v[76:77], v[22:23], v[120:121]
	v_fma_f64 v[70:71], v[56:57], s[4:5], v[92:93]
	v_fma_f64 v[56:57], v[56:57], s[2:3], v[58:59]
	;; [unrolled: 1-line block ×3, first 2 shown]
	v_fma_f64 v[58:59], v[122:123], -0.5, v[64:65]
	v_fma_f64 v[54:55], v[34:35], s[2:3], v[54:55]
	v_fma_f64 v[34:35], v[46:47], s[0:1], v[36:37]
	v_add_f64 v[46:47], v[136:137], v[128:129]
	v_add_f64 v[22:23], v[42:43], v[96:97]
	v_fma_f64 v[38:39], v[52:53], s[0:1], v[38:39]
	v_fma_f64 v[42:43], v[52:53], s[0:1], v[60:61]
	v_add_f64 v[52:53], v[62:63], v[90:91]
	v_fma_f64 v[60:61], v[124:125], s[2:3], v[72:73]
	v_add_f64 v[62:63], v[126:127], v[132:133]
	;; [unrolled: 2-line block ×3, first 2 shown]
	v_add_f64 v[88:89], v[66:67], v[102:103]
	v_fma_f64 v[92:93], v[24:25], -0.5, v[66:67]
	v_add_f64 v[94:95], v[100:101], -v[110:111]
	v_fma_f64 v[66:67], v[68:69], -0.5, v[66:67]
	v_add_f64 v[68:69], v[78:79], v[80:81]
	v_add_f64 v[24:25], v[28:29], v[98:99]
	v_fma_f64 v[28:29], v[50:51], s[0:1], v[48:49]
	v_add_f64 v[48:49], v[104:105], -v[90:91]
	v_fma_f64 v[44:45], v[76:77], s[0:1], v[56:57]
	v_fma_f64 v[40:41], v[76:77], s[0:1], v[70:71]
	;; [unrolled: 1-line block ×4, first 2 shown]
	v_add_f64 v[70:71], v[104:105], -v[100:101]
	v_add_f64 v[76:77], v[90:91], -v[110:111]
	v_add_f64 v[90:91], v[82:83], v[118:119]
	v_fma_f64 v[96:97], v[46:47], -0.5, v[82:83]
	v_add_f64 v[98:99], v[86:87], -v[140:141]
	v_fma_f64 v[36:37], v[50:51], s[0:1], v[54:55]
	v_add_f64 v[46:47], v[52:53], v[110:111]
	v_fma_f64 v[50:51], v[62:63], s[0:1], v[60:61]
	v_add_f64 v[52:53], v[78:79], -v[80:81]
	v_fma_f64 v[60:61], v[72:73], -0.5, v[82:83]
	v_fma_f64 v[54:55], v[62:63], s[0:1], v[64:65]
	v_add_f64 v[62:63], v[88:89], v[106:107]
	v_fma_f64 v[64:65], v[94:95], s[12:13], v[92:93]
	v_add_f64 v[72:73], v[102:103], -v[106:107]
	v_add_f64 v[82:83], v[116:117], -v[108:109]
	v_fma_f64 v[88:89], v[94:95], s[16:17], v[92:93]
	v_add_f64 v[92:93], v[84:85], v[86:87]
	v_add_f64 v[100:101], v[106:107], -v[102:103]
	v_add_f64 v[102:103], v[108:109], -v[116:117]
	v_fma_f64 v[68:69], v[68:69], -0.5, v[84:85]
	v_add_f64 v[104:105], v[118:119], -v[130:131]
	v_fma_f64 v[106:107], v[48:49], s[16:17], v[66:67]
	v_fma_f64 v[56:57], v[74:75], s[2:3], v[56:57]
	;; [unrolled: 1-line block ×4, first 2 shown]
	v_add_f64 v[70:71], v[70:71], v[76:77]
	v_add_f64 v[66:67], v[90:91], v[136:137]
	v_fma_f64 v[76:77], v[98:99], s[16:17], v[96:97]
	v_add_f64 v[90:91], v[118:119], -v[136:137]
	v_add_f64 v[110:111], v[130:131], -v[128:129]
	v_fma_f64 v[96:97], v[98:99], s[12:13], v[96:97]
	v_fma_f64 v[120:121], v[52:53], s[12:13], v[60:61]
	v_add_f64 v[122:123], v[86:87], v[140:141]
	v_add_f64 v[118:119], v[136:137], -v[118:119]
	v_add_f64 v[124:125], v[128:129], -v[130:131]
	v_add_f64 v[108:109], v[62:63], v[108:109]
	v_fma_f64 v[64:65], v[48:49], s[4:5], v[64:65]
	v_add_f64 v[72:73], v[72:73], v[82:83]
	v_add_f64 v[82:83], v[92:93], v[78:79]
	v_fma_f64 v[88:89], v[48:49], s[2:3], v[88:89]
	v_add_f64 v[48:49], v[20:21], v[134:135]
	v_add_f64 v[92:93], v[100:101], v[102:103]
	v_fma_f64 v[100:101], v[104:105], s[12:13], v[68:69]
	v_add_f64 v[102:103], v[136:137], -v[128:129]
	v_add_f64 v[126:127], v[86:87], -v[78:79]
	;; [unrolled: 1-line block ×3, first 2 shown]
	v_fma_f64 v[68:69], v[104:105], s[16:17], v[68:69]
	v_add_f64 v[136:137], v[18:19], v[6:7]
	v_fma_f64 v[106:107], v[94:95], s[4:5], v[106:107]
	v_fma_f64 v[94:95], v[94:95], s[2:3], v[58:59]
	v_add_f64 v[66:67], v[66:67], v[128:129]
	v_add_f64 v[90:91], v[90:91], v[110:111]
	v_fma_f64 v[96:97], v[52:53], s[4:5], v[96:97]
	v_fma_f64 v[76:77], v[52:53], s[2:3], v[76:77]
	v_fma_f64 v[84:85], v[122:123], -0.5, v[84:85]
	v_fma_f64 v[110:111], v[98:99], s[2:3], v[120:121]
	v_fma_f64 v[120:121], v[52:53], s[16:17], v[60:61]
	v_add_f64 v[118:119], v[118:119], v[124:125]
	v_fma_f64 v[58:59], v[70:71], s[0:1], v[56:57]
	s_waitcnt lgkmcnt(0)
	v_add_f64 v[122:123], v[30:31], v[18:19]
	v_add_f64 v[82:83], v[82:83], v[80:81]
	v_add_f64 v[128:129], v[8:9], -v[4:5]
	v_fma_f64 v[124:125], v[48:49], -0.5, v[30:31]
	v_add_f64 v[48:49], v[108:109], v[116:117]
	v_fma_f64 v[56:57], v[72:73], s[0:1], v[88:89]
	v_fma_f64 v[100:101], v[102:103], s[4:5], v[100:101]
	v_add_f64 v[116:117], v[12:13], -v[10:11]
	v_add_f64 v[108:109], v[126:127], v[132:133]
	v_fma_f64 v[88:89], v[102:103], s[2:3], v[68:69]
	v_fma_f64 v[30:31], v[136:137], -0.5, v[30:31]
	v_fma_f64 v[52:53], v[72:73], s[0:1], v[64:65]
	v_fma_f64 v[64:65], v[92:93], s[0:1], v[94:95]
	v_add_f64 v[94:95], v[12:13], v[10:11]
	v_add_f64 v[78:79], v[78:79], -v[86:87]
	v_add_f64 v[80:81], v[80:81], -v[140:141]
	v_fma_f64 v[62:63], v[70:71], s[0:1], v[74:75]
	v_fma_f64 v[74:75], v[90:91], s[0:1], v[96:97]
	v_add_f64 v[96:97], v[8:9], v[4:5]
	v_fma_f64 v[60:61], v[92:93], s[0:1], v[106:107]
	v_fma_f64 v[70:71], v[90:91], s[0:1], v[76:77]
	;; [unrolled: 1-line block ×4, first 2 shown]
	v_add_f64 v[68:69], v[82:83], v[140:141]
	v_fma_f64 v[82:83], v[102:103], s[12:13], v[84:85]
	v_fma_f64 v[86:87], v[128:129], s[16:17], v[124:125]
	v_add_f64 v[98:99], v[18:19], -v[20:21]
	v_add_f64 v[102:103], v[6:7], -v[134:135]
	v_add_f64 v[84:85], v[122:123], v[20:21]
	v_add_f64 v[120:121], v[138:139], v[142:143]
	v_fma_f64 v[72:73], v[108:109], s[0:1], v[100:101]
	v_add_f64 v[100:101], v[112:113], v[14:15]
	v_fma_f64 v[76:77], v[108:109], s[0:1], v[88:89]
	v_fma_f64 v[88:89], v[128:129], s[12:13], v[124:125]
	;; [unrolled: 1-line block ×4, first 2 shown]
	v_add_f64 v[108:109], v[20:21], -v[18:19]
	v_add_f64 v[122:123], v[134:135], -v[6:7]
	v_add_f64 v[124:125], v[114:115], v[16:17]
	v_add_f64 v[126:127], v[32:33], v[8:9]
	v_fma_f64 v[94:95], v[94:95], -0.5, v[32:33]
	v_add_f64 v[18:19], v[18:19], -v[6:7]
	v_add_f64 v[78:79], v[78:79], v[80:81]
	v_add_f64 v[80:81], v[144:145], v[146:147]
	v_add_f64 v[20:21], v[20:21], -v[134:135]
	v_fma_f64 v[32:33], v[96:97], -0.5, v[32:33]
	v_add_f64 v[66:67], v[66:67], v[130:131]
	v_fma_f64 v[86:87], v[116:117], s[2:3], v[86:87]
	v_fma_f64 v[92:93], v[104:105], s[4:5], v[92:93]
	v_add_f64 v[96:97], v[98:99], v[102:103]
	v_add_f64 v[98:99], v[0:1], v[138:139]
	v_add_f64 v[102:103], v[144:145], -v[146:147]
	v_fma_f64 v[82:83], v[104:105], s[2:3], v[82:83]
	v_fma_f64 v[100:101], v[100:101], -0.5, v[0:1]
	v_fma_f64 v[0:1], v[120:121], -0.5, v[0:1]
	v_fma_f64 v[88:89], v[116:117], s[4:5], v[88:89]
	v_fma_f64 v[104:105], v[128:129], s[2:3], v[106:107]
	;; [unrolled: 1-line block ×3, first 2 shown]
	v_add_f64 v[30:31], v[2:3], v[144:145]
	v_add_f64 v[108:109], v[108:109], v[122:123]
	v_fma_f64 v[120:121], v[124:125], -0.5, v[2:3]
	v_add_f64 v[122:123], v[138:139], -v[142:143]
	v_add_f64 v[124:125], v[126:127], v[12:13]
	v_add_f64 v[106:107], v[114:115], -v[16:17]
	v_fma_f64 v[126:127], v[18:19], s[12:13], v[94:95]
	v_add_f64 v[128:129], v[112:113], -v[14:15]
	v_fma_f64 v[2:3], v[80:81], -0.5, v[2:3]
	v_add_f64 v[80:81], v[8:9], -v[12:13]
	v_add_f64 v[130:131], v[4:5], -v[10:11]
	v_fma_f64 v[94:95], v[18:19], s[16:17], v[94:95]
	v_fma_f64 v[132:133], v[20:21], s[16:17], v[32:33]
	v_add_f64 v[8:9], v[12:13], -v[8:9]
	v_add_f64 v[12:13], v[10:11], -v[4:5]
	v_fma_f64 v[32:33], v[20:21], s[12:13], v[32:33]
	v_add_f64 v[84:85], v[84:85], v[134:135]
	v_add_f64 v[98:99], v[98:99], v[112:113]
	v_fma_f64 v[134:135], v[102:103], s[16:17], v[100:101]
	v_add_f64 v[136:137], v[138:139], -v[112:113]
	v_add_f64 v[140:141], v[142:143], -v[14:15]
	;; [unrolled: 1-line block ×3, first 2 shown]
	v_add_f64 v[30:31], v[30:31], v[114:115]
	v_add_f64 v[138:139], v[14:15], -v[142:143]
	v_add_f64 v[152:153], v[144:145], -v[114:115]
	;; [unrolled: 1-line block ×3, first 2 shown]
	v_fma_f64 v[144:145], v[122:123], s[12:13], v[120:121]
	v_add_f64 v[124:125], v[124:125], v[10:11]
	v_add_f64 v[10:11], v[146:147], -v[16:17]
	v_fma_f64 v[100:101], v[102:103], s[12:13], v[100:101]
	v_fma_f64 v[148:149], v[106:107], s[12:13], v[0:1]
	;; [unrolled: 1-line block ×4, first 2 shown]
	v_add_f64 v[80:81], v[80:81], v[130:131]
	v_fma_f64 v[130:131], v[128:129], s[16:17], v[2:3]
	v_fma_f64 v[126:127], v[20:21], s[4:5], v[126:127]
	;; [unrolled: 1-line block ×3, first 2 shown]
	v_add_f64 v[94:95], v[16:17], -v[146:147]
	v_fma_f64 v[2:3], v[128:129], s[12:13], v[2:3]
	v_add_f64 v[154:155], v[8:9], v[12:13]
	v_fma_f64 v[8:9], v[118:119], s[0:1], v[90:91]
	v_fma_f64 v[90:91], v[18:19], s[4:5], v[132:133]
	;; [unrolled: 1-line block ×4, first 2 shown]
	v_add_f64 v[98:99], v[98:99], v[14:15]
	v_fma_f64 v[118:119], v[106:107], s[2:3], v[134:135]
	v_add_f64 v[134:135], v[30:31], v[16:17]
	v_add_f64 v[132:133], v[136:137], v[140:141]
	;; [unrolled: 1-line block ×3, first 2 shown]
	v_fma_f64 v[136:137], v[128:129], s[4:5], v[144:145]
	v_add_f64 v[138:139], v[152:153], v[10:11]
	v_fma_f64 v[100:101], v[106:107], s[4:5], v[100:101]
	v_fma_f64 v[106:107], v[102:103], s[2:3], v[148:149]
	v_fma_f64 v[102:103], v[102:103], s[4:5], v[150:151]
	v_fma_f64 v[120:121], v[128:129], s[2:3], v[120:121]
	v_fma_f64 v[10:11], v[78:79], s[0:1], v[82:83]
	v_fma_f64 v[128:129], v[122:123], s[4:5], v[130:131]
	v_add_f64 v[12:13], v[84:85], v[6:7]
	v_add_f64 v[14:15], v[124:125], v[4:5]
	;; [unrolled: 1-line block ×3, first 2 shown]
	v_fma_f64 v[122:123], v[122:123], s[2:3], v[2:3]
	v_fma_f64 v[2:3], v[78:79], s[0:1], v[92:93]
	;; [unrolled: 1-line block ×10, first 2 shown]
	v_add_f64 v[4:5], v[98:99], v[142:143]
	v_add_f64 v[6:7], v[134:135], v[146:147]
	v_fma_f64 v[86:87], v[132:133], s[0:1], v[118:119]
	v_fma_f64 v[88:89], v[138:139], s[0:1], v[136:137]
	v_fma_f64 v[90:91], v[132:133], s[0:1], v[100:101]
	v_fma_f64 v[94:95], v[112:113], s[0:1], v[106:107]
	v_fma_f64 v[98:99], v[112:113], s[0:1], v[102:103]
	v_fma_f64 v[92:93], v[138:139], s[0:1], v[120:121]
	s_mov_b32 s2, 0x4a19b16e
	s_mov_b32 s3, 0x3f47d4ce
	v_fma_f64 v[96:97], v[114:115], s[0:1], v[128:129]
	v_fma_f64 v[100:101], v[114:115], s[0:1], v[122:123]
	ds_write_b128 v194, v[22:25]
	ds_write_b128 v194, v[26:29] offset:4400
	ds_write_b128 v194, v[38:41] offset:8800
	;; [unrolled: 1-line block ×24, first 2 shown]
	s_waitcnt lgkmcnt(0)
	s_barrier
	buffer_gl0_inv
	ds_read_b128 v[0:3], v194
	s_clause 0x3
	buffer_load_dword v15, off, s[40:43], 0 offset:552
	buffer_load_dword v16, off, s[40:43], 0 offset:556
	;; [unrolled: 1-line block ×4, first 2 shown]
	ds_read_b128 v[4:7], v194 offset:2000
	s_clause 0x1
	buffer_load_dword v12, off, s[40:43], 0 offset:544
	buffer_load_dword v13, off, s[40:43], 0 offset:548
	v_mad_u64_u32 v[26:27], null, s8, v250, 0
	s_mul_hi_u32 s1, s8, 0x7d
	s_waitcnt vmcnt(0)
	v_mov_b32_e32 v13, v27
	s_waitcnt lgkmcnt(1)
	v_mul_f64 v[8:9], v[17:18], v[2:3]
	v_mul_f64 v[10:11], v[17:18], v[0:1]
	v_mov_b32_e32 v14, v12
	v_mad_u64_u32 v[24:25], null, s10, v14, 0
	v_mad_u64_u32 v[20:21], null, s9, v250, v[13:14]
	s_mul_i32 s10, s8, 0xfffffb55
	v_mov_b32_e32 v12, v25
	v_mov_b32_e32 v27, v20
	v_fma_f64 v[0:1], v[15:16], v[0:1], v[8:9]
	v_fma_f64 v[2:3], v[15:16], v[2:3], -v[10:11]
	ds_read_b128 v[8:11], v194 offset:4000
	s_clause 0x3
	buffer_load_dword v34, off, s[40:43], 0 offset:256
	buffer_load_dword v35, off, s[40:43], 0 offset:260
	;; [unrolled: 1-line block ×4, first 2 shown]
	v_mad_u64_u32 v[16:17], null, s11, v14, v[12:13]
	ds_read_b128 v[12:15], v194 offset:880
	v_lshlrev_b64 v[32:33], 4, v[26:27]
	v_mov_b32_e32 v25, v16
	ds_read_b128 v[16:19], v194 offset:6000
	s_clause 0x3
	buffer_load_dword v46, off, s[40:43], 0 offset:400
	buffer_load_dword v47, off, s[40:43], 0 offset:404
	;; [unrolled: 1-line block ×4, first 2 shown]
	v_mul_f64 v[20:21], v[0:1], s[2:3]
	v_lshlrev_b64 v[0:1], 4, v[24:25]
	v_mul_f64 v[22:23], v[2:3], s[2:3]
	ds_read_b128 v[24:27], v194 offset:8000
	v_add_co_u32 v2, s0, s14, v0
	v_add_co_ci_u32_e64 v3, s0, s15, v1, s0
	v_add_co_u32 v52, s0, v2, v32
	v_add_co_ci_u32_e64 v53, s0, v3, v33, s0
	s_mul_i32 s0, s9, 0x7d
	s_add_i32 s1, s1, s0
	s_mul_i32 s0, s8, 0x7d
	s_lshl_b64 s[4:5], s[0:1], 4
	s_mul_i32 s1, s9, 0xfffffb55
	v_add_co_u32 v80, s0, v52, s4
	v_add_co_ci_u32_e64 v81, s0, s5, v53, s0
	v_add_co_u32 v82, s0, v80, s4
	v_add_co_ci_u32_e64 v83, s0, s5, v81, s0
	s_waitcnt vmcnt(4) lgkmcnt(4)
	v_mul_f64 v[28:29], v[36:37], v[6:7]
	v_mul_f64 v[30:31], v[36:37], v[4:5]
	s_waitcnt vmcnt(0) lgkmcnt(3)
	v_mul_f64 v[40:41], v[48:49], v[10:11]
	v_mul_f64 v[42:43], v[48:49], v[8:9]
	v_fma_f64 v[44:45], v[34:35], v[4:5], v[28:29]
	v_fma_f64 v[0:1], v[34:35], v[6:7], -v[30:31]
	ds_read_b128 v[4:7], v194 offset:10000
	s_clause 0x3
	buffer_load_dword v66, off, s[40:43], 0 offset:304
	buffer_load_dword v67, off, s[40:43], 0 offset:308
	;; [unrolled: 1-line block ×4, first 2 shown]
	ds_read_b128 v[28:31], v194 offset:2880
	ds_read_b128 v[32:35], v194 offset:4880
	;; [unrolled: 1-line block ×3, first 2 shown]
	global_store_dwordx4 v[52:53], v[20:23], off
	v_fma_f64 v[54:55], v[46:47], v[8:9], v[40:41]
	v_fma_f64 v[56:57], v[46:47], v[10:11], -v[42:43]
	ds_read_b128 v[8:11], v194 offset:8880
	s_clause 0x3
	buffer_load_dword v74, off, s[40:43], 0 offset:352
	buffer_load_dword v75, off, s[40:43], 0 offset:356
	;; [unrolled: 1-line block ×4, first 2 shown]
	ds_read_b128 v[40:43], v194 offset:10880
	v_mul_f64 v[20:21], v[44:45], s[2:3]
	v_mul_f64 v[22:23], v[0:1], s[2:3]
	;; [unrolled: 1-line block ×4, first 2 shown]
	s_waitcnt vmcnt(4) lgkmcnt(7)
	v_mul_f64 v[48:49], v[68:69], v[18:19]
	v_mul_f64 v[50:51], v[68:69], v[16:17]
	s_clause 0x3
	buffer_load_dword v68, off, s[40:43], 0 offset:336
	buffer_load_dword v69, off, s[40:43], 0 offset:340
	;; [unrolled: 1-line block ×4, first 2 shown]
	ds_read_b128 v[44:47], v194 offset:12000
	s_waitcnt vmcnt(4) lgkmcnt(7)
	v_mul_f64 v[58:59], v[76:77], v[26:27]
	v_mul_f64 v[60:61], v[76:77], v[24:25]
	v_fma_f64 v[0:1], v[66:67], v[16:17], v[48:49]
	v_fma_f64 v[66:67], v[66:67], v[18:19], -v[50:51]
	ds_read_b128 v[16:19], v194 offset:14000
	ds_read_b128 v[48:51], v194 offset:16000
	v_fma_f64 v[72:73], v[74:75], v[24:25], v[58:59]
	v_fma_f64 v[74:75], v[74:75], v[26:27], -v[60:61]
	v_mul_f64 v[60:61], v[0:1], s[2:3]
	v_add_co_u32 v0, s0, v82, s4
	v_add_co_ci_u32_e64 v1, s0, s5, v83, s0
	v_add_co_u32 v96, s0, v0, s4
	v_add_co_ci_u32_e64 v97, s0, s5, v1, s0
	v_mul_f64 v[72:73], v[72:73], s[2:3]
	v_mul_f64 v[74:75], v[74:75], s[2:3]
	v_add_co_u32 v110, s0, v96, s4
	v_add_co_ci_u32_e64 v111, s0, s5, v97, s0
	s_waitcnt vmcnt(0) lgkmcnt(8)
	v_mul_f64 v[62:63], v[70:71], v[6:7]
	v_mul_f64 v[64:65], v[70:71], v[4:5]
	v_fma_f64 v[76:77], v[68:69], v[4:5], v[62:63]
	v_fma_f64 v[78:79], v[68:69], v[6:7], -v[64:65]
	ds_read_b128 v[4:7], v194 offset:12880
	s_clause 0x3
	buffer_load_dword v98, off, s[40:43], 0 offset:208
	buffer_load_dword v99, off, s[40:43], 0 offset:212
	;; [unrolled: 1-line block ×4, first 2 shown]
	ds_read_b128 v[24:27], v194 offset:14880
	v_mul_f64 v[62:63], v[66:67], s[2:3]
	v_mul_f64 v[76:77], v[76:77], s[2:3]
	;; [unrolled: 1-line block ×3, first 2 shown]
	s_waitcnt vmcnt(0) lgkmcnt(4)
	v_mul_f64 v[84:85], v[100:101], v[46:47]
	v_mul_f64 v[86:87], v[100:101], v[44:45]
	s_clause 0x3
	buffer_load_dword v100, off, s[40:43], 0 offset:224
	buffer_load_dword v101, off, s[40:43], 0 offset:228
	;; [unrolled: 1-line block ×4, first 2 shown]
	ds_read_b128 v[56:59], v194 offset:16880
	v_fma_f64 v[84:85], v[98:99], v[44:45], v[84:85]
	v_fma_f64 v[86:87], v[98:99], v[46:47], -v[86:87]
	s_waitcnt vmcnt(0) lgkmcnt(4)
	v_mul_f64 v[88:89], v[102:103], v[18:19]
	v_mul_f64 v[90:91], v[102:103], v[16:17]
	s_clause 0x3
	buffer_load_dword v102, off, s[40:43], 0 offset:240
	buffer_load_dword v103, off, s[40:43], 0 offset:244
	;; [unrolled: 1-line block ×4, first 2 shown]
	ds_read_b128 v[64:67], v194 offset:18000
	ds_read_b128 v[68:71], v194 offset:20000
	v_fma_f64 v[88:89], v[100:101], v[16:17], v[88:89]
	v_fma_f64 v[90:91], v[100:101], v[18:19], -v[90:91]
	ds_read_b128 v[16:19], v194 offset:18880
	s_clause 0x3
	buffer_load_dword v116, off, s[40:43], 0 offset:288
	buffer_load_dword v117, off, s[40:43], 0 offset:292
	;; [unrolled: 1-line block ×4, first 2 shown]
	ds_read_b128 v[44:47], v194 offset:20880
	s_clause 0x3
	buffer_load_dword v112, off, s[40:43], 0 offset:272
	buffer_load_dword v113, off, s[40:43], 0 offset:276
	;; [unrolled: 1-line block ×4, first 2 shown]
	s_waitcnt vmcnt(8) lgkmcnt(7)
	v_mul_f64 v[92:93], v[104:105], v[50:51]
	v_mul_f64 v[94:95], v[104:105], v[48:49]
	v_fma_f64 v[92:93], v[102:103], v[48:49], v[92:93]
	s_waitcnt vmcnt(4) lgkmcnt(3)
	v_mul_f64 v[98:99], v[118:119], v[66:67]
	v_mul_f64 v[100:101], v[118:119], v[64:65]
	s_clause 0x3
	buffer_load_dword v118, off, s[40:43], 0 offset:320
	buffer_load_dword v119, off, s[40:43], 0 offset:324
	;; [unrolled: 1-line block ×4, first 2 shown]
	global_store_dwordx4 v[80:81], v[20:23], off
	global_store_dwordx4 v[82:83], v[52:55], off
	;; [unrolled: 1-line block ×5, first 2 shown]
	v_mul_f64 v[20:21], v[84:85], s[2:3]
	s_clause 0x3
	buffer_load_dword v82, off, s[40:43], 0 offset:368
	buffer_load_dword v83, off, s[40:43], 0 offset:372
	;; [unrolled: 1-line block ×4, first 2 shown]
	v_fma_f64 v[94:95], v[102:103], v[50:51], -v[94:95]
	s_waitcnt vmcnt(8) lgkmcnt(2)
	v_mul_f64 v[102:103], v[114:115], v[70:71]
	v_mul_f64 v[104:105], v[114:115], v[68:69]
	;; [unrolled: 1-line block ×5, first 2 shown]
	v_add_co_u32 v62, s0, v110, s4
	v_add_co_ci_u32_e64 v63, s0, s5, v111, s0
	v_mul_f64 v[52:53], v[92:93], s[2:3]
	v_fma_f64 v[0:1], v[116:117], v[64:65], v[98:99]
	v_fma_f64 v[60:61], v[116:117], v[66:67], -v[100:101]
	v_mul_f64 v[54:55], v[94:95], s[2:3]
	v_fma_f64 v[64:65], v[112:113], v[68:69], v[102:103]
	v_fma_f64 v[66:67], v[112:113], v[70:71], -v[104:105]
	s_waitcnt vmcnt(4)
	v_mul_f64 v[106:107], v[120:121], v[14:15]
	v_mul_f64 v[108:109], v[120:121], v[12:13]
	s_waitcnt vmcnt(0)
	v_mul_f64 v[72:73], v[84:85], v[30:31]
	v_mul_f64 v[74:75], v[84:85], v[28:29]
	s_clause 0x3
	buffer_load_dword v84, off, s[40:43], 0 offset:416
	buffer_load_dword v85, off, s[40:43], 0 offset:420
	;; [unrolled: 1-line block ×4, first 2 shown]
	v_fma_f64 v[68:69], v[118:119], v[12:13], v[106:107]
	v_add_co_u32 v12, s0, v62, s4
	v_add_co_ci_u32_e64 v13, s0, s5, v63, s0
	v_fma_f64 v[70:71], v[118:119], v[14:15], -v[108:109]
	v_add_co_u32 v76, s0, v12, s4
	v_add_co_ci_u32_e64 v77, s0, s5, v13, s0
	global_store_dwordx4 v[62:63], v[20:23], off
	global_store_dwordx4 v[12:13], v[48:51], off
	;; [unrolled: 1-line block ×3, first 2 shown]
	v_mul_f64 v[22:23], v[66:67], s[2:3]
	v_mul_f64 v[12:13], v[0:1], s[2:3]
	;; [unrolled: 1-line block ×4, first 2 shown]
	v_add_co_u32 v0, s0, v76, s4
	v_add_co_ci_u32_e64 v1, s0, s5, v77, s0
	s_mul_hi_u32 s0, s8, 0xfffffb55
	v_fma_f64 v[28:29], v[82:83], v[28:29], v[72:73]
	v_mul_f64 v[48:49], v[68:69], s[2:3]
	s_clause 0x3
	buffer_load_dword v66, off, s[40:43], 0 offset:384
	buffer_load_dword v67, off, s[40:43], 0 offset:388
	;; [unrolled: 1-line block ×4, first 2 shown]
	s_sub_i32 s0, s0, s8
	v_fma_f64 v[30:31], v[82:83], v[30:31], -v[74:75]
	s_add_i32 s11, s0, s1
	v_mul_f64 v[50:51], v[70:71], s[2:3]
	v_add_co_u32 v60, s0, v0, s4
	v_add_co_ci_u32_e64 v61, s0, s5, v1, s0
	s_lshl_b64 s[10:11], s[10:11], 4
	v_add_co_u32 v62, s0, v60, s10
	v_add_co_ci_u32_e64 v63, s0, s11, v61, s0
	global_store_dwordx4 v[0:1], v[12:15], off
	v_mul_f64 v[12:13], v[28:29], s[2:3]
	v_add_co_u32 v28, s0, v62, s4
	v_add_co_ci_u32_e64 v29, s0, s5, v63, s0
	v_mul_f64 v[14:15], v[30:31], s[2:3]
	s_waitcnt vmcnt(4)
	v_mul_f64 v[80:81], v[86:87], v[32:33]
	v_mul_f64 v[78:79], v[86:87], v[34:35]
	v_fma_f64 v[34:35], v[84:85], v[34:35], -v[80:81]
	v_fma_f64 v[32:33], v[84:85], v[32:33], v[78:79]
	s_waitcnt vmcnt(0)
	v_mul_f64 v[52:53], v[68:69], v[38:39]
	v_mul_f64 v[54:55], v[68:69], v[36:37]
	s_clause 0x3
	buffer_load_dword v68, off, s[40:43], 0 offset:432
	buffer_load_dword v69, off, s[40:43], 0 offset:436
	;; [unrolled: 1-line block ×4, first 2 shown]
	global_store_dwordx4 v[60:61], v[20:23], off
	global_store_dwordx4 v[62:63], v[48:51], off
	s_clause 0x7
	buffer_load_dword v74, off, s[40:43], 0 offset:448
	buffer_load_dword v75, off, s[40:43], 0 offset:452
	;; [unrolled: 1-line block ×8, first 2 shown]
	v_mul_f64 v[22:23], v[34:35], s[2:3]
	v_mul_f64 v[20:21], v[32:33], s[2:3]
	v_fma_f64 v[30:31], v[66:67], v[36:37], v[52:53]
	v_fma_f64 v[32:33], v[66:67], v[38:39], -v[54:55]
	v_add_co_u32 v38, s0, v28, s4
	v_add_co_ci_u32_e64 v39, s0, s5, v29, s0
	s_waitcnt vmcnt(8)
	v_mul_f64 v[64:65], v[70:71], v[8:9]
	v_mul_f64 v[0:1], v[70:71], v[10:11]
	s_waitcnt vmcnt(4)
	v_mul_f64 v[34:35], v[76:77], v[42:43]
	v_mul_f64 v[36:37], v[76:77], v[40:41]
	;; [unrolled: 3-line block ×3, first 2 shown]
	s_clause 0x7
	buffer_load_dword v76, off, s[40:43], 0 offset:464
	buffer_load_dword v77, off, s[40:43], 0 offset:468
	;; [unrolled: 1-line block ×8, first 2 shown]
	v_fma_f64 v[52:53], v[68:69], v[10:11], -v[64:65]
	v_fma_f64 v[0:1], v[68:69], v[8:9], v[0:1]
	v_mul_f64 v[8:9], v[30:31], s[2:3]
	v_mul_f64 v[10:11], v[32:33], s[2:3]
	s_waitcnt vmcnt(4)
	v_mul_f64 v[54:55], v[78:79], v[26:27]
	s_waitcnt vmcnt(0)
	v_mul_f64 v[62:63], v[84:85], v[58:59]
	v_mul_f64 v[64:65], v[84:85], v[56:57]
	s_clause 0x3
	buffer_load_dword v84, off, s[40:43], 0 offset:512
	buffer_load_dword v85, off, s[40:43], 0 offset:516
	;; [unrolled: 1-line block ×4, first 2 shown]
	v_mul_f64 v[60:61], v[78:79], v[24:25]
	s_waitcnt vmcnt(0) lgkmcnt(1)
	v_mul_f64 v[66:67], v[86:87], v[18:19]
	v_mul_f64 v[68:69], v[86:87], v[16:17]
	s_clause 0x3
	buffer_load_dword v86, off, s[40:43], 0 offset:528
	buffer_load_dword v87, off, s[40:43], 0 offset:532
	;; [unrolled: 1-line block ×4, first 2 shown]
	global_store_dwordx4 v[28:29], v[12:15], off
	global_store_dwordx4 v[38:39], v[20:23], off
	v_fma_f64 v[14:15], v[74:75], v[42:43], -v[36:37]
	v_add_co_u32 v36, s0, v38, s4
	v_fma_f64 v[12:13], v[74:75], v[40:41], v[34:35]
	v_add_co_ci_u32_e64 v37, s0, s5, v39, s0
	v_fma_f64 v[20:21], v[80:81], v[4:5], v[48:49]
	v_fma_f64 v[22:23], v[80:81], v[6:7], -v[50:51]
	v_mul_f64 v[4:5], v[0:1], s[2:3]
	v_fma_f64 v[0:1], v[76:77], v[24:25], v[54:55]
	v_fma_f64 v[24:25], v[76:77], v[26:27], -v[60:61]
	v_fma_f64 v[26:27], v[82:83], v[56:57], v[62:63]
	v_fma_f64 v[28:29], v[82:83], v[58:59], -v[64:65]
	v_add_co_u32 v40, s0, v36, s4
	v_add_co_ci_u32_e64 v41, s0, s5, v37, s0
	v_mul_f64 v[6:7], v[52:53], s[2:3]
	v_fma_f64 v[30:31], v[84:85], v[16:17], v[66:67]
	v_fma_f64 v[32:33], v[84:85], v[18:19], -v[68:69]
	v_add_co_u32 v42, s0, v40, s4
	v_add_co_ci_u32_e64 v43, s0, s5, v41, s0
	v_mul_f64 v[14:15], v[14:15], s[2:3]
	v_mul_f64 v[12:13], v[12:13], s[2:3]
	global_store_dwordx4 v[36:37], v[8:11], off
	v_mul_f64 v[16:17], v[20:21], s[2:3]
	v_mul_f64 v[18:19], v[22:23], s[2:3]
	;; [unrolled: 1-line block ×6, first 2 shown]
	global_store_dwordx4 v[40:41], v[4:7], off
	v_mul_f64 v[28:29], v[30:31], s[2:3]
	v_mul_f64 v[30:31], v[32:33], s[2:3]
	global_store_dwordx4 v[42:43], v[12:15], off
	s_waitcnt vmcnt(0) lgkmcnt(0)
	v_mul_f64 v[70:71], v[88:89], v[46:47]
	v_mul_f64 v[72:73], v[88:89], v[44:45]
	v_fma_f64 v[34:35], v[86:87], v[44:45], v[70:71]
	v_fma_f64 v[38:39], v[86:87], v[46:47], -v[72:73]
	v_add_co_u32 v44, s0, v42, s4
	v_add_co_ci_u32_e64 v45, s0, s5, v43, s0
	v_mul_f64 v[32:33], v[34:35], s[2:3]
	v_mul_f64 v[34:35], v[38:39], s[2:3]
	v_add_co_u32 v38, s0, v44, s4
	v_add_co_ci_u32_e64 v39, s0, s5, v45, s0
	v_add_co_u32 v8, s0, v38, s4
	v_add_co_ci_u32_e64 v9, s0, s5, v39, s0
	;; [unrolled: 2-line block ×4, first 2 shown]
	global_store_dwordx4 v[44:45], v[16:19], off
	global_store_dwordx4 v[38:39], v[20:23], off
	;; [unrolled: 1-line block ×5, first 2 shown]
	s_and_b32 exec_lo, exec_lo, vcc_lo
	s_cbranch_execz .LBB0_15
; %bb.14:
	s_clause 0x1
	buffer_load_dword v4, off, s[40:43], 0 offset:128
	buffer_load_dword v5, off, s[40:43], 0 offset:132
	v_add_co_u32 v0, vcc_lo, v0, s10
	v_add_co_ci_u32_e32 v1, vcc_lo, s11, v1, vcc_lo
	s_waitcnt vmcnt(0)
	global_load_dwordx4 v[4:7], v[4:5], off offset:1760
	ds_read_b128 v[8:11], v194 offset:1760
	ds_read_b128 v[12:15], v194 offset:3760
	s_waitcnt vmcnt(0) lgkmcnt(1)
	v_mul_f64 v[16:17], v[10:11], v[6:7]
	v_mul_f64 v[6:7], v[8:9], v[6:7]
	v_fma_f64 v[8:9], v[8:9], v[4:5], v[16:17]
	v_fma_f64 v[6:7], v[4:5], v[10:11], -v[6:7]
	v_mul_f64 v[4:5], v[8:9], s[2:3]
	v_mul_f64 v[6:7], v[6:7], s[2:3]
	global_store_dwordx4 v[0:1], v[4:7], off
	s_clause 0x1
	buffer_load_dword v4, off, s[40:43], 0 offset:176
	buffer_load_dword v5, off, s[40:43], 0 offset:180
	v_add_co_u32 v0, vcc_lo, v0, s4
	v_add_co_ci_u32_e32 v1, vcc_lo, s5, v1, vcc_lo
	s_waitcnt vmcnt(0)
	global_load_dwordx4 v[4:7], v[4:5], off offset:1712
	s_waitcnt vmcnt(0) lgkmcnt(0)
	v_mul_f64 v[8:9], v[14:15], v[6:7]
	v_mul_f64 v[6:7], v[12:13], v[6:7]
	v_fma_f64 v[8:9], v[12:13], v[4:5], v[8:9]
	v_fma_f64 v[6:7], v[4:5], v[14:15], -v[6:7]
	v_mul_f64 v[4:5], v[8:9], s[2:3]
	v_mul_f64 v[6:7], v[6:7], s[2:3]
	global_store_dwordx4 v[0:1], v[4:7], off
	s_clause 0x1
	buffer_load_dword v4, off, s[40:43], 0 offset:184
	buffer_load_dword v5, off, s[40:43], 0 offset:188
	v_add_co_u32 v0, vcc_lo, v0, s4
	v_add_co_ci_u32_e32 v1, vcc_lo, s5, v1, vcc_lo
	s_waitcnt vmcnt(0)
	global_load_dwordx4 v[4:7], v[4:5], off offset:1664
	ds_read_b128 v[8:11], v194 offset:5760
	ds_read_b128 v[12:15], v194 offset:7760
	s_waitcnt vmcnt(0) lgkmcnt(1)
	v_mul_f64 v[16:17], v[10:11], v[6:7]
	v_mul_f64 v[6:7], v[8:9], v[6:7]
	v_fma_f64 v[8:9], v[8:9], v[4:5], v[16:17]
	v_fma_f64 v[6:7], v[4:5], v[10:11], -v[6:7]
	v_mul_f64 v[4:5], v[8:9], s[2:3]
	v_mul_f64 v[6:7], v[6:7], s[2:3]
	global_store_dwordx4 v[0:1], v[4:7], off
	s_clause 0x1
	buffer_load_dword v4, off, s[40:43], 0 offset:168
	buffer_load_dword v5, off, s[40:43], 0 offset:172
	v_add_co_u32 v0, vcc_lo, v0, s4
	v_add_co_ci_u32_e32 v1, vcc_lo, s5, v1, vcc_lo
	s_waitcnt vmcnt(0)
	global_load_dwordx4 v[4:7], v[4:5], off offset:1616
	s_waitcnt vmcnt(0) lgkmcnt(0)
	v_mul_f64 v[8:9], v[14:15], v[6:7]
	v_mul_f64 v[6:7], v[12:13], v[6:7]
	v_fma_f64 v[8:9], v[12:13], v[4:5], v[8:9]
	v_fma_f64 v[6:7], v[4:5], v[14:15], -v[6:7]
	v_mul_f64 v[4:5], v[8:9], s[2:3]
	v_mul_f64 v[6:7], v[6:7], s[2:3]
	global_store_dwordx4 v[0:1], v[4:7], off
	;; [unrolled: 32-line block ×4, first 2 shown]
	s_clause 0x1
	buffer_load_dword v4, off, s[40:43], 0 offset:192
	buffer_load_dword v5, off, s[40:43], 0 offset:196
	v_add_co_u32 v0, vcc_lo, v0, s4
	v_add_co_ci_u32_e32 v1, vcc_lo, s5, v1, vcc_lo
	s_waitcnt vmcnt(0)
	global_load_dwordx4 v[4:7], v[4:5], off offset:1376
	ds_read_b128 v[8:11], v194 offset:17760
	ds_read_b128 v[12:15], v194 offset:19760
	s_waitcnt vmcnt(0) lgkmcnt(1)
	v_mul_f64 v[16:17], v[10:11], v[6:7]
	v_mul_f64 v[6:7], v[8:9], v[6:7]
	v_fma_f64 v[8:9], v[8:9], v[4:5], v[16:17]
	v_fma_f64 v[6:7], v[4:5], v[10:11], -v[6:7]
	v_mul_f64 v[4:5], v[8:9], s[2:3]
	v_mul_f64 v[6:7], v[6:7], s[2:3]
	global_store_dwordx4 v[0:1], v[4:7], off
	s_clause 0x1
	buffer_load_dword v4, off, s[40:43], 0 offset:200
	buffer_load_dword v5, off, s[40:43], 0 offset:204
	v_add_co_u32 v0, vcc_lo, v0, s4
	v_add_co_ci_u32_e32 v1, vcc_lo, s5, v1, vcc_lo
	s_waitcnt vmcnt(0)
	global_load_dwordx4 v[4:7], v[4:5], off offset:1328
	s_waitcnt vmcnt(0) lgkmcnt(0)
	v_mul_f64 v[8:9], v[14:15], v[6:7]
	v_mul_f64 v[6:7], v[12:13], v[6:7]
	v_fma_f64 v[8:9], v[12:13], v[4:5], v[8:9]
	buffer_load_dword v12, off, s[40:43], 0 offset:1072 ; 4-byte Folded Reload
	v_fma_f64 v[6:7], v[4:5], v[14:15], -v[6:7]
	v_mul_f64 v[4:5], v[8:9], s[2:3]
	v_mul_f64 v[6:7], v[6:7], s[2:3]
	global_store_dwordx4 v[0:1], v[4:7], off
	s_waitcnt vmcnt(0)
	v_lshlrev_b32_e32 v8, 4, v12
	global_load_dwordx4 v[4:7], v8, s[6:7]
	ds_read_b128 v[8:11], v194 offset:21760
	s_waitcnt vmcnt(0) lgkmcnt(0)
	v_mul_f64 v[0:1], v[10:11], v[6:7]
	v_mul_f64 v[6:7], v[8:9], v[6:7]
	v_fma_f64 v[0:1], v[8:9], v[4:5], v[0:1]
	v_fma_f64 v[6:7], v[4:5], v[10:11], -v[6:7]
	v_mad_u64_u32 v[8:9], null, s8, v12, 0
	v_mov_b32_e32 v4, v9
	v_mad_u64_u32 v[9:10], null, s9, v12, v[4:5]
	v_mul_f64 v[4:5], v[0:1], s[2:3]
	v_mul_f64 v[6:7], v[6:7], s[2:3]
	v_lshlrev_b64 v[0:1], 4, v[8:9]
	v_add_co_u32 v0, vcc_lo, v2, v0
	v_add_co_ci_u32_e32 v1, vcc_lo, v3, v1, vcc_lo
	global_store_dwordx4 v[0:1], v[4:7], off
.LBB0_15:
	s_endpgm
	.section	.rodata,"a",@progbits
	.p2align	6, 0x0
	.amdhsa_kernel bluestein_single_back_len1375_dim1_dp_op_CI_CI
		.amdhsa_group_segment_fixed_size 22000
		.amdhsa_private_segment_fixed_size 1084
		.amdhsa_kernarg_size 104
		.amdhsa_user_sgpr_count 6
		.amdhsa_user_sgpr_private_segment_buffer 1
		.amdhsa_user_sgpr_dispatch_ptr 0
		.amdhsa_user_sgpr_queue_ptr 0
		.amdhsa_user_sgpr_kernarg_segment_ptr 1
		.amdhsa_user_sgpr_dispatch_id 0
		.amdhsa_user_sgpr_flat_scratch_init 0
		.amdhsa_user_sgpr_private_segment_size 0
		.amdhsa_wavefront_size32 1
		.amdhsa_uses_dynamic_stack 0
		.amdhsa_system_sgpr_private_segment_wavefront_offset 1
		.amdhsa_system_sgpr_workgroup_id_x 1
		.amdhsa_system_sgpr_workgroup_id_y 0
		.amdhsa_system_sgpr_workgroup_id_z 0
		.amdhsa_system_sgpr_workgroup_info 0
		.amdhsa_system_vgpr_workitem_id 0
		.amdhsa_next_free_vgpr 256
		.amdhsa_next_free_sgpr 44
		.amdhsa_reserve_vcc 1
		.amdhsa_reserve_flat_scratch 0
		.amdhsa_float_round_mode_32 0
		.amdhsa_float_round_mode_16_64 0
		.amdhsa_float_denorm_mode_32 3
		.amdhsa_float_denorm_mode_16_64 3
		.amdhsa_dx10_clamp 1
		.amdhsa_ieee_mode 1
		.amdhsa_fp16_overflow 0
		.amdhsa_workgroup_processor_mode 1
		.amdhsa_memory_ordered 1
		.amdhsa_forward_progress 0
		.amdhsa_shared_vgpr_count 0
		.amdhsa_exception_fp_ieee_invalid_op 0
		.amdhsa_exception_fp_denorm_src 0
		.amdhsa_exception_fp_ieee_div_zero 0
		.amdhsa_exception_fp_ieee_overflow 0
		.amdhsa_exception_fp_ieee_underflow 0
		.amdhsa_exception_fp_ieee_inexact 0
		.amdhsa_exception_int_div_zero 0
	.end_amdhsa_kernel
	.text
.Lfunc_end0:
	.size	bluestein_single_back_len1375_dim1_dp_op_CI_CI, .Lfunc_end0-bluestein_single_back_len1375_dim1_dp_op_CI_CI
                                        ; -- End function
	.section	.AMDGPU.csdata,"",@progbits
; Kernel info:
; codeLenInByte = 51804
; NumSgprs: 46
; NumVgprs: 256
; ScratchSize: 1084
; MemoryBound: 0
; FloatMode: 240
; IeeeMode: 1
; LDSByteSize: 22000 bytes/workgroup (compile time only)
; SGPRBlocks: 5
; VGPRBlocks: 31
; NumSGPRsForWavesPerEU: 46
; NumVGPRsForWavesPerEU: 256
; Occupancy: 3
; WaveLimiterHint : 1
; COMPUTE_PGM_RSRC2:SCRATCH_EN: 1
; COMPUTE_PGM_RSRC2:USER_SGPR: 6
; COMPUTE_PGM_RSRC2:TRAP_HANDLER: 0
; COMPUTE_PGM_RSRC2:TGID_X_EN: 1
; COMPUTE_PGM_RSRC2:TGID_Y_EN: 0
; COMPUTE_PGM_RSRC2:TGID_Z_EN: 0
; COMPUTE_PGM_RSRC2:TIDIG_COMP_CNT: 0
	.text
	.p2alignl 6, 3214868480
	.fill 48, 4, 3214868480
	.type	__hip_cuid_b48ffbc7d31034ab,@object ; @__hip_cuid_b48ffbc7d31034ab
	.section	.bss,"aw",@nobits
	.globl	__hip_cuid_b48ffbc7d31034ab
__hip_cuid_b48ffbc7d31034ab:
	.byte	0                               ; 0x0
	.size	__hip_cuid_b48ffbc7d31034ab, 1

	.ident	"AMD clang version 19.0.0git (https://github.com/RadeonOpenCompute/llvm-project roc-6.4.0 25133 c7fe45cf4b819c5991fe208aaa96edf142730f1d)"
	.section	".note.GNU-stack","",@progbits
	.addrsig
	.addrsig_sym __hip_cuid_b48ffbc7d31034ab
	.amdgpu_metadata
---
amdhsa.kernels:
  - .args:
      - .actual_access:  read_only
        .address_space:  global
        .offset:         0
        .size:           8
        .value_kind:     global_buffer
      - .actual_access:  read_only
        .address_space:  global
        .offset:         8
        .size:           8
        .value_kind:     global_buffer
      - .actual_access:  read_only
        .address_space:  global
        .offset:         16
        .size:           8
        .value_kind:     global_buffer
      - .actual_access:  read_only
        .address_space:  global
        .offset:         24
        .size:           8
        .value_kind:     global_buffer
      - .actual_access:  read_only
        .address_space:  global
        .offset:         32
        .size:           8
        .value_kind:     global_buffer
      - .offset:         40
        .size:           8
        .value_kind:     by_value
      - .address_space:  global
        .offset:         48
        .size:           8
        .value_kind:     global_buffer
      - .address_space:  global
        .offset:         56
        .size:           8
        .value_kind:     global_buffer
      - .address_space:  global
        .offset:         64
        .size:           8
        .value_kind:     global_buffer
      - .address_space:  global
        .offset:         72
        .size:           8
        .value_kind:     global_buffer
      - .offset:         80
        .size:           4
        .value_kind:     by_value
      - .address_space:  global
        .offset:         88
        .size:           8
        .value_kind:     global_buffer
      - .address_space:  global
        .offset:         96
        .size:           8
        .value_kind:     global_buffer
    .group_segment_fixed_size: 22000
    .kernarg_segment_align: 8
    .kernarg_segment_size: 104
    .language:       OpenCL C
    .language_version:
      - 2
      - 0
    .max_flat_workgroup_size: 55
    .name:           bluestein_single_back_len1375_dim1_dp_op_CI_CI
    .private_segment_fixed_size: 1084
    .sgpr_count:     46
    .sgpr_spill_count: 0
    .symbol:         bluestein_single_back_len1375_dim1_dp_op_CI_CI.kd
    .uniform_work_group_size: 1
    .uses_dynamic_stack: false
    .vgpr_count:     256
    .vgpr_spill_count: 310
    .wavefront_size: 32
    .workgroup_processor_mode: 1
amdhsa.target:   amdgcn-amd-amdhsa--gfx1030
amdhsa.version:
  - 1
  - 2
...

	.end_amdgpu_metadata
